;; amdgpu-corpus repo=zjin-lcf/HeCBench kind=compiled arch=gfx906 opt=O3
	.amdgcn_target "amdgcn-amd-amdhsa--gfx906"
	.amdhsa_code_object_version 6
	.text
	.protected	_Z9printAIGAPKiS0_S0_iii ; -- Begin function _Z9printAIGAPKiS0_S0_iii
	.globl	_Z9printAIGAPKiS0_S0_iii
	.p2align	8
	.type	_Z9printAIGAPKiS0_S0_iii,@function
_Z9printAIGAPKiS0_S0_iii:               ; @_Z9printAIGAPKiS0_S0_iii
; %bb.0:
	s_load_dword s2, s[4:5], 0x34
	s_add_u32 s0, s4, 40
	s_addc_u32 s1, s5, 0
	v_sub_u32_e32 v0, 0, v0
	s_waitcnt lgkmcnt(0)
	s_and_b32 s2, s2, 0xffff
	s_mul_i32 s6, s6, s2
	v_cmp_eq_u32_e32 vcc, s6, v0
	s_and_saveexec_b64 s[2:3], vcc
	s_cbranch_execz .LBB0_1163
; %bb.1:
	s_load_dwordx2 s[2:3], s[0:1], 0x50
	v_mbcnt_lo_u32_b32 v0, -1, 0
	v_mbcnt_hi_u32_b32 v31, -1, v0
	v_readfirstlane_b32 s0, v31
	v_mov_b32_e32 v5, 0
	v_mov_b32_e32 v6, 0
	v_cmp_eq_u32_e64 s[0:1], s0, v31
	s_and_saveexec_b64 s[6:7], s[0:1]
	s_cbranch_execz .LBB0_7
; %bb.2:
	v_mov_b32_e32 v0, 0
	s_waitcnt lgkmcnt(0)
	global_load_dwordx2 v[3:4], v0, s[2:3] offset:24 glc
	s_waitcnt vmcnt(0)
	buffer_wbinvl1_vol
	global_load_dwordx2 v[1:2], v0, s[2:3] offset:40
	global_load_dwordx2 v[5:6], v0, s[2:3]
	s_waitcnt vmcnt(1)
	v_and_b32_e32 v1, v1, v3
	v_and_b32_e32 v2, v2, v4
	v_mul_lo_u32 v2, v2, 24
	v_mul_hi_u32 v7, v1, 24
	v_mul_lo_u32 v1, v1, 24
	v_add_u32_e32 v2, v7, v2
	s_waitcnt vmcnt(0)
	v_add_co_u32_e32 v1, vcc, v5, v1
	v_addc_co_u32_e32 v2, vcc, v6, v2, vcc
	global_load_dwordx2 v[1:2], v[1:2], off glc
	s_waitcnt vmcnt(0)
	global_atomic_cmpswap_x2 v[5:6], v0, v[1:4], s[2:3] offset:24 glc
	s_waitcnt vmcnt(0)
	buffer_wbinvl1_vol
	v_cmp_ne_u64_e32 vcc, v[5:6], v[3:4]
	s_and_saveexec_b64 s[8:9], vcc
	s_cbranch_execz .LBB0_6
; %bb.3:
	s_mov_b64 s[10:11], 0
.LBB0_4:                                ; =>This Inner Loop Header: Depth=1
	s_sleep 1
	global_load_dwordx2 v[1:2], v0, s[2:3] offset:40
	global_load_dwordx2 v[7:8], v0, s[2:3]
	v_mov_b32_e32 v3, v5
	v_mov_b32_e32 v4, v6
	s_waitcnt vmcnt(1)
	v_and_b32_e32 v1, v1, v3
	s_waitcnt vmcnt(0)
	v_mad_u64_u32 v[5:6], s[12:13], v1, 24, v[7:8]
	v_and_b32_e32 v2, v2, v4
	v_mov_b32_e32 v1, v6
	v_mad_u64_u32 v[1:2], s[12:13], v2, 24, v[1:2]
	v_mov_b32_e32 v6, v1
	global_load_dwordx2 v[1:2], v[5:6], off glc
	s_waitcnt vmcnt(0)
	global_atomic_cmpswap_x2 v[5:6], v0, v[1:4], s[2:3] offset:24 glc
	s_waitcnt vmcnt(0)
	buffer_wbinvl1_vol
	v_cmp_eq_u64_e32 vcc, v[5:6], v[3:4]
	s_or_b64 s[10:11], vcc, s[10:11]
	s_andn2_b64 exec, exec, s[10:11]
	s_cbranch_execnz .LBB0_4
; %bb.5:
	s_or_b64 exec, exec, s[10:11]
.LBB0_6:
	s_or_b64 exec, exec, s[8:9]
.LBB0_7:
	s_or_b64 exec, exec, s[6:7]
	v_mov_b32_e32 v4, 0
	s_waitcnt lgkmcnt(0)
	global_load_dwordx2 v[7:8], v4, s[2:3] offset:40
	global_load_dwordx4 v[0:3], v4, s[2:3]
	v_readfirstlane_b32 s7, v6
	v_readfirstlane_b32 s6, v5
	s_mov_b64 s[8:9], exec
	s_waitcnt vmcnt(1)
	v_readfirstlane_b32 s10, v7
	v_readfirstlane_b32 s11, v8
	s_and_b64 s[10:11], s[10:11], s[6:7]
	s_mul_i32 s12, s11, 24
	s_mul_hi_u32 s13, s10, 24
	s_mul_i32 s14, s10, 24
	s_add_i32 s12, s13, s12
	v_mov_b32_e32 v5, s12
	s_waitcnt vmcnt(0)
	v_add_co_u32_e32 v7, vcc, s14, v0
	v_addc_co_u32_e32 v8, vcc, v1, v5, vcc
	s_and_saveexec_b64 s[12:13], s[0:1]
	s_cbranch_execz .LBB0_9
; %bb.8:
	v_mov_b32_e32 v10, s9
	v_mov_b32_e32 v9, s8
	;; [unrolled: 1-line block ×4, first 2 shown]
	global_store_dwordx4 v[7:8], v[9:12], off offset:8
.LBB0_9:
	s_or_b64 exec, exec, s[12:13]
	s_lshl_b64 s[8:9], s[10:11], 12
	v_mov_b32_e32 v5, s9
	v_add_co_u32_e32 v2, vcc, s8, v2
	v_addc_co_u32_e32 v11, vcc, v3, v5, vcc
	v_lshlrev_b32_e32 v32, 6, v31
	s_mov_b32 s8, 0
	v_mov_b32_e32 v3, 33
	v_mov_b32_e32 v5, v4
	;; [unrolled: 1-line block ×3, first 2 shown]
	v_readfirstlane_b32 s12, v2
	v_readfirstlane_b32 s13, v11
	v_add_co_u32_e32 v9, vcc, v2, v32
	s_mov_b32 s9, s8
	s_mov_b32 s10, s8
	s_mov_b32 s11, s8
	s_nop 0
	global_store_dwordx4 v32, v[3:6], s[12:13]
	v_mov_b32_e32 v2, s8
	v_addc_co_u32_e32 v10, vcc, 0, v11, vcc
	v_mov_b32_e32 v3, s9
	v_mov_b32_e32 v4, s10
	;; [unrolled: 1-line block ×3, first 2 shown]
	global_store_dwordx4 v32, v[2:5], s[12:13] offset:16
	global_store_dwordx4 v32, v[2:5], s[12:13] offset:32
	;; [unrolled: 1-line block ×3, first 2 shown]
	s_and_saveexec_b64 s[8:9], s[0:1]
	s_cbranch_execz .LBB0_17
; %bb.10:
	v_mov_b32_e32 v6, 0
	global_load_dwordx2 v[13:14], v6, s[2:3] offset:32 glc
	global_load_dwordx2 v[2:3], v6, s[2:3] offset:40
	v_mov_b32_e32 v11, s6
	v_mov_b32_e32 v12, s7
	s_waitcnt vmcnt(0)
	v_and_b32_e32 v2, s6, v2
	v_and_b32_e32 v3, s7, v3
	v_mul_lo_u32 v3, v3, 24
	v_mul_hi_u32 v4, v2, 24
	v_mul_lo_u32 v2, v2, 24
	v_add_u32_e32 v3, v4, v3
	v_add_co_u32_e32 v4, vcc, v0, v2
	v_addc_co_u32_e32 v5, vcc, v1, v3, vcc
	global_store_dwordx2 v[4:5], v[13:14], off
	s_waitcnt vmcnt(0)
	global_atomic_cmpswap_x2 v[2:3], v6, v[11:14], s[2:3] offset:32 glc
	s_waitcnt vmcnt(0)
	v_cmp_ne_u64_e32 vcc, v[2:3], v[13:14]
	s_and_saveexec_b64 s[10:11], vcc
	s_cbranch_execz .LBB0_13
; %bb.11:
	s_mov_b64 s[12:13], 0
.LBB0_12:                               ; =>This Inner Loop Header: Depth=1
	s_sleep 1
	global_store_dwordx2 v[4:5], v[2:3], off
	v_mov_b32_e32 v0, s6
	v_mov_b32_e32 v1, s7
	s_waitcnt vmcnt(0)
	global_atomic_cmpswap_x2 v[0:1], v6, v[0:3], s[2:3] offset:32 glc
	s_waitcnt vmcnt(0)
	v_cmp_eq_u64_e32 vcc, v[0:1], v[2:3]
	v_mov_b32_e32 v3, v1
	s_or_b64 s[12:13], vcc, s[12:13]
	v_mov_b32_e32 v2, v0
	s_andn2_b64 exec, exec, s[12:13]
	s_cbranch_execnz .LBB0_12
.LBB0_13:
	s_or_b64 exec, exec, s[10:11]
	v_mov_b32_e32 v3, 0
	global_load_dwordx2 v[0:1], v3, s[2:3] offset:16
	s_mov_b64 s[10:11], exec
	v_mbcnt_lo_u32_b32 v2, s10, 0
	v_mbcnt_hi_u32_b32 v2, s11, v2
	v_cmp_eq_u32_e32 vcc, 0, v2
	s_and_saveexec_b64 s[12:13], vcc
	s_cbranch_execz .LBB0_15
; %bb.14:
	s_bcnt1_i32_b64 s10, s[10:11]
	v_mov_b32_e32 v2, s10
	s_waitcnt vmcnt(0)
	global_atomic_add_x2 v[0:1], v[2:3], off offset:8
.LBB0_15:
	s_or_b64 exec, exec, s[12:13]
	s_waitcnt vmcnt(0)
	global_load_dwordx2 v[2:3], v[0:1], off offset:16
	s_waitcnt vmcnt(0)
	v_cmp_eq_u64_e32 vcc, 0, v[2:3]
	s_cbranch_vccnz .LBB0_17
; %bb.16:
	global_load_dword v0, v[0:1], off offset:24
	v_mov_b32_e32 v1, 0
	s_waitcnt vmcnt(0)
	v_readfirstlane_b32 s10, v0
	s_and_b32 m0, s10, 0xffffff
	global_store_dwordx2 v[2:3], v[0:1], off
	s_sendmsg sendmsg(MSG_INTERRUPT)
.LBB0_17:
	s_or_b64 exec, exec, s[8:9]
	s_branch .LBB0_21
.LBB0_18:                               ;   in Loop: Header=BB0_21 Depth=1
	s_or_b64 exec, exec, s[8:9]
	v_readfirstlane_b32 s8, v0
	s_cmp_eq_u32 s8, 0
	s_cbranch_scc1 .LBB0_20
; %bb.19:                               ;   in Loop: Header=BB0_21 Depth=1
	s_sleep 1
	s_cbranch_execnz .LBB0_21
	s_branch .LBB0_23
.LBB0_20:
	s_branch .LBB0_23
.LBB0_21:                               ; =>This Inner Loop Header: Depth=1
	v_mov_b32_e32 v0, 1
	s_and_saveexec_b64 s[8:9], s[0:1]
	s_cbranch_execz .LBB0_18
; %bb.22:                               ;   in Loop: Header=BB0_21 Depth=1
	global_load_dword v0, v[7:8], off offset:20 glc
	s_waitcnt vmcnt(0)
	buffer_wbinvl1_vol
	v_and_b32_e32 v0, 1, v0
	s_branch .LBB0_18
.LBB0_23:
	global_load_dwordx2 v[0:1], v[9:10], off
	s_and_saveexec_b64 s[8:9], s[0:1]
	s_cbranch_execz .LBB0_26
; %bb.24:
	v_mov_b32_e32 v8, 0
	global_load_dwordx2 v[2:3], v8, s[2:3] offset:40
	global_load_dwordx2 v[11:12], v8, s[2:3] offset:24 glc
	global_load_dwordx2 v[4:5], v8, s[2:3]
	s_waitcnt vmcnt(2)
	v_readfirstlane_b32 s10, v2
	v_readfirstlane_b32 s11, v3
	s_add_u32 s12, s10, 1
	s_addc_u32 s13, s11, 0
	s_add_u32 s0, s12, s6
	s_addc_u32 s1, s13, s7
	s_cmp_eq_u64 s[0:1], 0
	s_cselect_b32 s1, s13, s1
	s_cselect_b32 s0, s12, s0
	s_and_b64 s[6:7], s[0:1], s[10:11]
	s_mul_i32 s7, s7, 24
	s_mul_hi_u32 s10, s6, 24
	s_mul_i32 s6, s6, 24
	s_add_i32 s7, s10, s7
	v_mov_b32_e32 v2, s7
	s_waitcnt vmcnt(0)
	v_add_co_u32_e32 v6, vcc, s6, v4
	v_addc_co_u32_e32 v7, vcc, v5, v2, vcc
	v_mov_b32_e32 v9, s0
	global_store_dwordx2 v[6:7], v[11:12], off
	v_mov_b32_e32 v10, s1
	s_waitcnt vmcnt(0)
	global_atomic_cmpswap_x2 v[4:5], v8, v[9:12], s[2:3] offset:24 glc
	s_mov_b64 s[6:7], 0
	s_waitcnt vmcnt(0)
	v_cmp_ne_u64_e32 vcc, v[4:5], v[11:12]
	s_and_b64 exec, exec, vcc
	s_cbranch_execz .LBB0_26
.LBB0_25:                               ; =>This Inner Loop Header: Depth=1
	s_sleep 1
	global_store_dwordx2 v[6:7], v[4:5], off
	v_mov_b32_e32 v2, s0
	v_mov_b32_e32 v3, s1
	s_waitcnt vmcnt(0)
	global_atomic_cmpswap_x2 v[2:3], v8, v[2:5], s[2:3] offset:24 glc
	s_waitcnt vmcnt(0)
	v_cmp_eq_u64_e32 vcc, v[2:3], v[4:5]
	v_mov_b32_e32 v5, v3
	s_or_b64 s[6:7], vcc, s[6:7]
	v_mov_b32_e32 v4, v2
	s_andn2_b64 exec, exec, s[6:7]
	s_cbranch_execnz .LBB0_25
.LBB0_26:
	s_or_b64 exec, exec, s[8:9]
	s_getpc_b64 s[6:7]
	s_add_u32 s6, s6, .str@rel32@lo+4
	s_addc_u32 s7, s7, .str@rel32@hi+12
	s_cmp_lg_u64 s[6:7], 0
	s_cbranch_scc0 .LBB0_112
; %bb.27:
	s_waitcnt vmcnt(0)
	v_and_b32_e32 v6, -3, v0
	v_mov_b32_e32 v7, v1
	s_mov_b64 s[8:9], 18
	v_mov_b32_e32 v26, 0
	v_mov_b32_e32 v4, 2
	;; [unrolled: 1-line block ×3, first 2 shown]
	s_branch .LBB0_29
.LBB0_28:                               ;   in Loop: Header=BB0_29 Depth=1
	s_or_b64 exec, exec, s[14:15]
	s_sub_u32 s8, s8, s10
	s_subb_u32 s9, s9, s11
	s_add_u32 s6, s6, s10
	s_addc_u32 s7, s7, s11
	s_cmp_lg_u64 s[8:9], 0
	s_cbranch_scc0 .LBB0_111
.LBB0_29:                               ; =>This Loop Header: Depth=1
                                        ;     Child Loop BB0_32 Depth 2
                                        ;     Child Loop BB0_40 Depth 2
	;; [unrolled: 1-line block ×11, first 2 shown]
	v_cmp_lt_u64_e64 s[0:1], s[8:9], 56
	v_cmp_gt_u64_e64 s[12:13], s[8:9], 7
	s_and_b64 s[0:1], s[0:1], exec
	s_cselect_b32 s11, s9, 0
	s_cselect_b32 s10, s8, 56
	s_add_u32 s0, s6, 8
	s_addc_u32 s1, s7, 0
	s_and_b64 vcc, exec, s[12:13]
	s_cbranch_vccnz .LBB0_33
; %bb.30:                               ;   in Loop: Header=BB0_29 Depth=1
	s_cmp_eq_u64 s[8:9], 0
	s_cbranch_scc1 .LBB0_34
; %bb.31:                               ;   in Loop: Header=BB0_29 Depth=1
	s_waitcnt vmcnt(0)
	v_mov_b32_e32 v8, 0
	s_lshl_b64 s[0:1], s[10:11], 3
	s_mov_b64 s[12:13], 0
	v_mov_b32_e32 v9, 0
	s_mov_b64 s[14:15], s[6:7]
.LBB0_32:                               ;   Parent Loop BB0_29 Depth=1
                                        ; =>  This Inner Loop Header: Depth=2
	global_load_ubyte v2, v26, s[14:15]
	s_waitcnt vmcnt(0)
	v_and_b32_e32 v25, 0xffff, v2
	v_lshlrev_b64 v[2:3], s12, v[25:26]
	s_add_u32 s12, s12, 8
	s_addc_u32 s13, s13, 0
	s_add_u32 s14, s14, 1
	s_addc_u32 s15, s15, 0
	v_or_b32_e32 v8, v2, v8
	s_cmp_lg_u32 s0, s12
	v_or_b32_e32 v9, v3, v9
	s_cbranch_scc1 .LBB0_32
	s_branch .LBB0_35
.LBB0_33:                               ;   in Loop: Header=BB0_29 Depth=1
	s_mov_b32 s16, 0
	s_branch .LBB0_36
.LBB0_34:                               ;   in Loop: Header=BB0_29 Depth=1
	s_waitcnt vmcnt(0)
	v_mov_b32_e32 v8, 0
	v_mov_b32_e32 v9, 0
.LBB0_35:                               ;   in Loop: Header=BB0_29 Depth=1
	s_mov_b64 s[0:1], s[6:7]
	s_mov_b32 s16, 0
	s_cbranch_execnz .LBB0_37
.LBB0_36:                               ;   in Loop: Header=BB0_29 Depth=1
	global_load_dwordx2 v[8:9], v26, s[6:7]
	s_add_i32 s16, s10, -8
.LBB0_37:                               ;   in Loop: Header=BB0_29 Depth=1
	s_add_u32 s12, s0, 8
	s_addc_u32 s13, s1, 0
	s_cmp_gt_u32 s16, 7
	s_cbranch_scc1 .LBB0_41
; %bb.38:                               ;   in Loop: Header=BB0_29 Depth=1
	s_cmp_eq_u32 s16, 0
	s_cbranch_scc1 .LBB0_42
; %bb.39:                               ;   in Loop: Header=BB0_29 Depth=1
	v_mov_b32_e32 v10, 0
	s_mov_b64 s[12:13], 0
	v_mov_b32_e32 v11, 0
	s_mov_b64 s[14:15], 0
.LBB0_40:                               ;   Parent Loop BB0_29 Depth=1
                                        ; =>  This Inner Loop Header: Depth=2
	s_add_u32 s18, s0, s14
	s_addc_u32 s19, s1, s15
	global_load_ubyte v2, v26, s[18:19]
	s_add_u32 s14, s14, 1
	s_addc_u32 s15, s15, 0
	s_waitcnt vmcnt(0)
	v_and_b32_e32 v25, 0xffff, v2
	v_lshlrev_b64 v[2:3], s12, v[25:26]
	s_add_u32 s12, s12, 8
	s_addc_u32 s13, s13, 0
	v_or_b32_e32 v10, v2, v10
	s_cmp_lg_u32 s16, s14
	v_or_b32_e32 v11, v3, v11
	s_cbranch_scc1 .LBB0_40
	s_branch .LBB0_43
.LBB0_41:                               ;   in Loop: Header=BB0_29 Depth=1
                                        ; implicit-def: $vgpr10_vgpr11
	s_mov_b32 s17, 0
	s_branch .LBB0_44
.LBB0_42:                               ;   in Loop: Header=BB0_29 Depth=1
	v_mov_b32_e32 v10, 0
	v_mov_b32_e32 v11, 0
.LBB0_43:                               ;   in Loop: Header=BB0_29 Depth=1
	s_mov_b64 s[12:13], s[0:1]
	s_mov_b32 s17, 0
	s_cbranch_execnz .LBB0_45
.LBB0_44:                               ;   in Loop: Header=BB0_29 Depth=1
	global_load_dwordx2 v[10:11], v26, s[0:1]
	s_add_i32 s17, s16, -8
.LBB0_45:                               ;   in Loop: Header=BB0_29 Depth=1
	s_add_u32 s0, s12, 8
	s_addc_u32 s1, s13, 0
	s_cmp_gt_u32 s17, 7
	s_cbranch_scc1 .LBB0_49
; %bb.46:                               ;   in Loop: Header=BB0_29 Depth=1
	s_cmp_eq_u32 s17, 0
	s_cbranch_scc1 .LBB0_50
; %bb.47:                               ;   in Loop: Header=BB0_29 Depth=1
	v_mov_b32_e32 v12, 0
	s_mov_b64 s[0:1], 0
	v_mov_b32_e32 v13, 0
	s_mov_b64 s[14:15], 0
.LBB0_48:                               ;   Parent Loop BB0_29 Depth=1
                                        ; =>  This Inner Loop Header: Depth=2
	s_add_u32 s18, s12, s14
	s_addc_u32 s19, s13, s15
	global_load_ubyte v2, v26, s[18:19]
	s_add_u32 s14, s14, 1
	s_addc_u32 s15, s15, 0
	s_waitcnt vmcnt(0)
	v_and_b32_e32 v25, 0xffff, v2
	v_lshlrev_b64 v[2:3], s0, v[25:26]
	s_add_u32 s0, s0, 8
	s_addc_u32 s1, s1, 0
	v_or_b32_e32 v12, v2, v12
	s_cmp_lg_u32 s17, s14
	v_or_b32_e32 v13, v3, v13
	s_cbranch_scc1 .LBB0_48
	s_branch .LBB0_51
.LBB0_49:                               ;   in Loop: Header=BB0_29 Depth=1
	s_mov_b32 s16, 0
	s_branch .LBB0_52
.LBB0_50:                               ;   in Loop: Header=BB0_29 Depth=1
	v_mov_b32_e32 v12, 0
	v_mov_b32_e32 v13, 0
.LBB0_51:                               ;   in Loop: Header=BB0_29 Depth=1
	s_mov_b64 s[0:1], s[12:13]
	s_mov_b32 s16, 0
	s_cbranch_execnz .LBB0_53
.LBB0_52:                               ;   in Loop: Header=BB0_29 Depth=1
	global_load_dwordx2 v[12:13], v26, s[12:13]
	s_add_i32 s16, s17, -8
.LBB0_53:                               ;   in Loop: Header=BB0_29 Depth=1
	s_add_u32 s12, s0, 8
	s_addc_u32 s13, s1, 0
	s_cmp_gt_u32 s16, 7
	s_cbranch_scc1 .LBB0_57
; %bb.54:                               ;   in Loop: Header=BB0_29 Depth=1
	s_cmp_eq_u32 s16, 0
	s_cbranch_scc1 .LBB0_58
; %bb.55:                               ;   in Loop: Header=BB0_29 Depth=1
	v_mov_b32_e32 v14, 0
	s_mov_b64 s[12:13], 0
	v_mov_b32_e32 v15, 0
	s_mov_b64 s[14:15], 0
.LBB0_56:                               ;   Parent Loop BB0_29 Depth=1
                                        ; =>  This Inner Loop Header: Depth=2
	s_add_u32 s18, s0, s14
	s_addc_u32 s19, s1, s15
	global_load_ubyte v2, v26, s[18:19]
	s_add_u32 s14, s14, 1
	s_addc_u32 s15, s15, 0
	s_waitcnt vmcnt(0)
	v_and_b32_e32 v25, 0xffff, v2
	v_lshlrev_b64 v[2:3], s12, v[25:26]
	s_add_u32 s12, s12, 8
	s_addc_u32 s13, s13, 0
	v_or_b32_e32 v14, v2, v14
	s_cmp_lg_u32 s16, s14
	v_or_b32_e32 v15, v3, v15
	s_cbranch_scc1 .LBB0_56
	s_branch .LBB0_59
.LBB0_57:                               ;   in Loop: Header=BB0_29 Depth=1
                                        ; implicit-def: $vgpr14_vgpr15
	s_mov_b32 s17, 0
	s_branch .LBB0_60
.LBB0_58:                               ;   in Loop: Header=BB0_29 Depth=1
	v_mov_b32_e32 v14, 0
	v_mov_b32_e32 v15, 0
.LBB0_59:                               ;   in Loop: Header=BB0_29 Depth=1
	s_mov_b64 s[12:13], s[0:1]
	s_mov_b32 s17, 0
	s_cbranch_execnz .LBB0_61
.LBB0_60:                               ;   in Loop: Header=BB0_29 Depth=1
	global_load_dwordx2 v[14:15], v26, s[0:1]
	s_add_i32 s17, s16, -8
.LBB0_61:                               ;   in Loop: Header=BB0_29 Depth=1
	s_add_u32 s0, s12, 8
	s_addc_u32 s1, s13, 0
	s_cmp_gt_u32 s17, 7
	s_cbranch_scc1 .LBB0_65
; %bb.62:                               ;   in Loop: Header=BB0_29 Depth=1
	s_cmp_eq_u32 s17, 0
	s_cbranch_scc1 .LBB0_66
; %bb.63:                               ;   in Loop: Header=BB0_29 Depth=1
	v_mov_b32_e32 v16, 0
	s_mov_b64 s[0:1], 0
	v_mov_b32_e32 v17, 0
	s_mov_b64 s[14:15], 0
.LBB0_64:                               ;   Parent Loop BB0_29 Depth=1
                                        ; =>  This Inner Loop Header: Depth=2
	s_add_u32 s18, s12, s14
	s_addc_u32 s19, s13, s15
	global_load_ubyte v2, v26, s[18:19]
	s_add_u32 s14, s14, 1
	s_addc_u32 s15, s15, 0
	s_waitcnt vmcnt(0)
	v_and_b32_e32 v25, 0xffff, v2
	v_lshlrev_b64 v[2:3], s0, v[25:26]
	s_add_u32 s0, s0, 8
	s_addc_u32 s1, s1, 0
	v_or_b32_e32 v16, v2, v16
	s_cmp_lg_u32 s17, s14
	v_or_b32_e32 v17, v3, v17
	s_cbranch_scc1 .LBB0_64
	s_branch .LBB0_67
.LBB0_65:                               ;   in Loop: Header=BB0_29 Depth=1
	s_mov_b32 s16, 0
	s_branch .LBB0_68
.LBB0_66:                               ;   in Loop: Header=BB0_29 Depth=1
	v_mov_b32_e32 v16, 0
	v_mov_b32_e32 v17, 0
.LBB0_67:                               ;   in Loop: Header=BB0_29 Depth=1
	s_mov_b64 s[0:1], s[12:13]
	s_mov_b32 s16, 0
	s_cbranch_execnz .LBB0_69
.LBB0_68:                               ;   in Loop: Header=BB0_29 Depth=1
	global_load_dwordx2 v[16:17], v26, s[12:13]
	s_add_i32 s16, s17, -8
.LBB0_69:                               ;   in Loop: Header=BB0_29 Depth=1
	s_add_u32 s12, s0, 8
	s_addc_u32 s13, s1, 0
	s_cmp_gt_u32 s16, 7
	s_cbranch_scc1 .LBB0_73
; %bb.70:                               ;   in Loop: Header=BB0_29 Depth=1
	s_cmp_eq_u32 s16, 0
	s_cbranch_scc1 .LBB0_74
; %bb.71:                               ;   in Loop: Header=BB0_29 Depth=1
	v_mov_b32_e32 v18, 0
	s_mov_b64 s[12:13], 0
	v_mov_b32_e32 v19, 0
	s_mov_b64 s[14:15], 0
.LBB0_72:                               ;   Parent Loop BB0_29 Depth=1
                                        ; =>  This Inner Loop Header: Depth=2
	s_add_u32 s18, s0, s14
	s_addc_u32 s19, s1, s15
	global_load_ubyte v2, v26, s[18:19]
	s_add_u32 s14, s14, 1
	s_addc_u32 s15, s15, 0
	s_waitcnt vmcnt(0)
	v_and_b32_e32 v25, 0xffff, v2
	v_lshlrev_b64 v[2:3], s12, v[25:26]
	s_add_u32 s12, s12, 8
	s_addc_u32 s13, s13, 0
	v_or_b32_e32 v18, v2, v18
	s_cmp_lg_u32 s16, s14
	v_or_b32_e32 v19, v3, v19
	s_cbranch_scc1 .LBB0_72
	s_branch .LBB0_75
.LBB0_73:                               ;   in Loop: Header=BB0_29 Depth=1
                                        ; implicit-def: $vgpr18_vgpr19
	s_mov_b32 s17, 0
	s_branch .LBB0_76
.LBB0_74:                               ;   in Loop: Header=BB0_29 Depth=1
	v_mov_b32_e32 v18, 0
	v_mov_b32_e32 v19, 0
.LBB0_75:                               ;   in Loop: Header=BB0_29 Depth=1
	s_mov_b64 s[12:13], s[0:1]
	s_mov_b32 s17, 0
	s_cbranch_execnz .LBB0_77
.LBB0_76:                               ;   in Loop: Header=BB0_29 Depth=1
	global_load_dwordx2 v[18:19], v26, s[0:1]
	s_add_i32 s17, s16, -8
.LBB0_77:                               ;   in Loop: Header=BB0_29 Depth=1
	s_cmp_gt_u32 s17, 7
	s_cbranch_scc1 .LBB0_81
; %bb.78:                               ;   in Loop: Header=BB0_29 Depth=1
	s_cmp_eq_u32 s17, 0
	s_cbranch_scc1 .LBB0_82
; %bb.79:                               ;   in Loop: Header=BB0_29 Depth=1
	v_mov_b32_e32 v20, 0
	s_mov_b64 s[0:1], 0
	v_mov_b32_e32 v21, 0
	s_mov_b64 s[14:15], s[12:13]
.LBB0_80:                               ;   Parent Loop BB0_29 Depth=1
                                        ; =>  This Inner Loop Header: Depth=2
	global_load_ubyte v2, v26, s[14:15]
	s_add_i32 s17, s17, -1
	s_waitcnt vmcnt(0)
	v_and_b32_e32 v25, 0xffff, v2
	v_lshlrev_b64 v[2:3], s0, v[25:26]
	s_add_u32 s0, s0, 8
	s_addc_u32 s1, s1, 0
	s_add_u32 s14, s14, 1
	s_addc_u32 s15, s15, 0
	v_or_b32_e32 v20, v2, v20
	s_cmp_lg_u32 s17, 0
	v_or_b32_e32 v21, v3, v21
	s_cbranch_scc1 .LBB0_80
	s_branch .LBB0_83
.LBB0_81:                               ;   in Loop: Header=BB0_29 Depth=1
	s_branch .LBB0_84
.LBB0_82:                               ;   in Loop: Header=BB0_29 Depth=1
	v_mov_b32_e32 v20, 0
	v_mov_b32_e32 v21, 0
.LBB0_83:                               ;   in Loop: Header=BB0_29 Depth=1
	s_cbranch_execnz .LBB0_85
.LBB0_84:                               ;   in Loop: Header=BB0_29 Depth=1
	global_load_dwordx2 v[20:21], v26, s[12:13]
.LBB0_85:                               ;   in Loop: Header=BB0_29 Depth=1
	v_readfirstlane_b32 s0, v31
	v_mov_b32_e32 v2, 0
	v_mov_b32_e32 v3, 0
	v_cmp_eq_u32_e64 s[0:1], s0, v31
	s_and_saveexec_b64 s[12:13], s[0:1]
	s_cbranch_execz .LBB0_91
; %bb.86:                               ;   in Loop: Header=BB0_29 Depth=1
	global_load_dwordx2 v[24:25], v26, s[2:3] offset:24 glc
	s_waitcnt vmcnt(0)
	buffer_wbinvl1_vol
	global_load_dwordx2 v[2:3], v26, s[2:3] offset:40
	global_load_dwordx2 v[22:23], v26, s[2:3]
	s_waitcnt vmcnt(1)
	v_and_b32_e32 v2, v2, v24
	v_and_b32_e32 v3, v3, v25
	v_mul_lo_u32 v3, v3, 24
	v_mul_hi_u32 v27, v2, 24
	v_mul_lo_u32 v2, v2, 24
	v_add_u32_e32 v3, v27, v3
	s_waitcnt vmcnt(0)
	v_add_co_u32_e32 v2, vcc, v22, v2
	v_addc_co_u32_e32 v3, vcc, v23, v3, vcc
	global_load_dwordx2 v[22:23], v[2:3], off glc
	s_waitcnt vmcnt(0)
	global_atomic_cmpswap_x2 v[2:3], v26, v[22:25], s[2:3] offset:24 glc
	s_waitcnt vmcnt(0)
	buffer_wbinvl1_vol
	v_cmp_ne_u64_e32 vcc, v[2:3], v[24:25]
	s_and_saveexec_b64 s[14:15], vcc
	s_cbranch_execz .LBB0_90
; %bb.87:                               ;   in Loop: Header=BB0_29 Depth=1
	s_mov_b64 s[16:17], 0
.LBB0_88:                               ;   Parent Loop BB0_29 Depth=1
                                        ; =>  This Inner Loop Header: Depth=2
	s_sleep 1
	global_load_dwordx2 v[22:23], v26, s[2:3] offset:40
	global_load_dwordx2 v[27:28], v26, s[2:3]
	v_mov_b32_e32 v25, v3
	v_mov_b32_e32 v24, v2
	s_waitcnt vmcnt(1)
	v_and_b32_e32 v2, v22, v24
	s_waitcnt vmcnt(0)
	v_mad_u64_u32 v[2:3], s[18:19], v2, 24, v[27:28]
	v_and_b32_e32 v22, v23, v25
	v_mad_u64_u32 v[22:23], s[18:19], v22, 24, v[3:4]
	v_mov_b32_e32 v3, v22
	global_load_dwordx2 v[22:23], v[2:3], off glc
	s_waitcnt vmcnt(0)
	global_atomic_cmpswap_x2 v[2:3], v26, v[22:25], s[2:3] offset:24 glc
	s_waitcnt vmcnt(0)
	buffer_wbinvl1_vol
	v_cmp_eq_u64_e32 vcc, v[2:3], v[24:25]
	s_or_b64 s[16:17], vcc, s[16:17]
	s_andn2_b64 exec, exec, s[16:17]
	s_cbranch_execnz .LBB0_88
; %bb.89:                               ;   in Loop: Header=BB0_29 Depth=1
	s_or_b64 exec, exec, s[16:17]
.LBB0_90:                               ;   in Loop: Header=BB0_29 Depth=1
	s_or_b64 exec, exec, s[14:15]
.LBB0_91:                               ;   in Loop: Header=BB0_29 Depth=1
	s_or_b64 exec, exec, s[12:13]
	global_load_dwordx2 v[27:28], v26, s[2:3] offset:40
	global_load_dwordx4 v[22:25], v26, s[2:3]
	v_readfirstlane_b32 s13, v3
	v_readfirstlane_b32 s12, v2
	s_mov_b64 s[14:15], exec
	s_waitcnt vmcnt(1)
	v_readfirstlane_b32 s16, v27
	v_readfirstlane_b32 s17, v28
	s_and_b64 s[16:17], s[16:17], s[12:13]
	s_mul_i32 s18, s17, 24
	s_mul_hi_u32 s19, s16, 24
	s_mul_i32 s20, s16, 24
	s_add_i32 s18, s19, s18
	v_mov_b32_e32 v2, s18
	s_waitcnt vmcnt(0)
	v_add_co_u32_e32 v27, vcc, s20, v22
	v_addc_co_u32_e32 v28, vcc, v23, v2, vcc
	s_and_saveexec_b64 s[18:19], s[0:1]
	s_cbranch_execz .LBB0_93
; %bb.92:                               ;   in Loop: Header=BB0_29 Depth=1
	v_mov_b32_e32 v2, s14
	v_mov_b32_e32 v3, s15
	global_store_dwordx4 v[27:28], v[2:5], off offset:8
.LBB0_93:                               ;   in Loop: Header=BB0_29 Depth=1
	s_or_b64 exec, exec, s[18:19]
	s_lshl_b64 s[14:15], s[16:17], 12
	v_cmp_gt_u64_e64 s[16:17], s[8:9], 56
	v_mov_b32_e32 v2, s15
	v_add_co_u32_e32 v24, vcc, s14, v24
	s_and_b64 s[14:15], s[16:17], exec
	s_cselect_b32 s14, 0, 2
	s_lshl_b32 s15, s10, 2
	v_addc_co_u32_e32 v29, vcc, v25, v2, vcc
	s_add_i32 s15, s15, 28
	v_and_b32_e32 v2, 0xffffff1f, v6
	s_and_b32 s15, s15, 0x1e0
	v_or_b32_e32 v2, s14, v2
	v_or_b32_e32 v6, s15, v2
	v_readfirstlane_b32 s14, v24
	v_readfirstlane_b32 s15, v29
	s_nop 4
	global_store_dwordx4 v32, v[6:9], s[14:15]
	global_store_dwordx4 v32, v[10:13], s[14:15] offset:16
	global_store_dwordx4 v32, v[14:17], s[14:15] offset:32
	;; [unrolled: 1-line block ×3, first 2 shown]
	s_and_saveexec_b64 s[14:15], s[0:1]
	s_cbranch_execz .LBB0_101
; %bb.94:                               ;   in Loop: Header=BB0_29 Depth=1
	global_load_dwordx2 v[10:11], v26, s[2:3] offset:32 glc
	global_load_dwordx2 v[2:3], v26, s[2:3] offset:40
	v_mov_b32_e32 v8, s12
	v_mov_b32_e32 v9, s13
	s_waitcnt vmcnt(0)
	v_readfirstlane_b32 s16, v2
	v_readfirstlane_b32 s17, v3
	s_and_b64 s[16:17], s[16:17], s[12:13]
	s_mul_i32 s17, s17, 24
	s_mul_hi_u32 s18, s16, 24
	s_mul_i32 s16, s16, 24
	s_add_i32 s17, s18, s17
	v_mov_b32_e32 v3, s17
	v_add_co_u32_e32 v2, vcc, s16, v22
	v_addc_co_u32_e32 v3, vcc, v23, v3, vcc
	global_store_dwordx2 v[2:3], v[10:11], off
	s_waitcnt vmcnt(0)
	global_atomic_cmpswap_x2 v[8:9], v26, v[8:11], s[2:3] offset:32 glc
	s_waitcnt vmcnt(0)
	v_cmp_ne_u64_e32 vcc, v[8:9], v[10:11]
	s_and_saveexec_b64 s[16:17], vcc
	s_cbranch_execz .LBB0_97
; %bb.95:                               ;   in Loop: Header=BB0_29 Depth=1
	s_mov_b64 s[18:19], 0
.LBB0_96:                               ;   Parent Loop BB0_29 Depth=1
                                        ; =>  This Inner Loop Header: Depth=2
	s_sleep 1
	global_store_dwordx2 v[2:3], v[8:9], off
	v_mov_b32_e32 v6, s12
	v_mov_b32_e32 v7, s13
	s_waitcnt vmcnt(0)
	global_atomic_cmpswap_x2 v[6:7], v26, v[6:9], s[2:3] offset:32 glc
	s_waitcnt vmcnt(0)
	v_cmp_eq_u64_e32 vcc, v[6:7], v[8:9]
	v_mov_b32_e32 v9, v7
	s_or_b64 s[18:19], vcc, s[18:19]
	v_mov_b32_e32 v8, v6
	s_andn2_b64 exec, exec, s[18:19]
	s_cbranch_execnz .LBB0_96
.LBB0_97:                               ;   in Loop: Header=BB0_29 Depth=1
	s_or_b64 exec, exec, s[16:17]
	global_load_dwordx2 v[2:3], v26, s[2:3] offset:16
	s_mov_b64 s[18:19], exec
	v_mbcnt_lo_u32_b32 v6, s18, 0
	v_mbcnt_hi_u32_b32 v6, s19, v6
	v_cmp_eq_u32_e32 vcc, 0, v6
	s_and_saveexec_b64 s[16:17], vcc
	s_cbranch_execz .LBB0_99
; %bb.98:                               ;   in Loop: Header=BB0_29 Depth=1
	s_bcnt1_i32_b64 s18, s[18:19]
	v_mov_b32_e32 v25, s18
	s_waitcnt vmcnt(0)
	global_atomic_add_x2 v[2:3], v[25:26], off offset:8
.LBB0_99:                               ;   in Loop: Header=BB0_29 Depth=1
	s_or_b64 exec, exec, s[16:17]
	s_waitcnt vmcnt(0)
	global_load_dwordx2 v[6:7], v[2:3], off offset:16
	s_waitcnt vmcnt(0)
	v_cmp_eq_u64_e32 vcc, 0, v[6:7]
	s_cbranch_vccnz .LBB0_101
; %bb.100:                              ;   in Loop: Header=BB0_29 Depth=1
	global_load_dword v25, v[2:3], off offset:24
	s_waitcnt vmcnt(0)
	v_readfirstlane_b32 s16, v25
	s_and_b32 m0, s16, 0xffffff
	global_store_dwordx2 v[6:7], v[25:26], off
	s_sendmsg sendmsg(MSG_INTERRUPT)
.LBB0_101:                              ;   in Loop: Header=BB0_29 Depth=1
	s_or_b64 exec, exec, s[14:15]
	v_add_co_u32_e32 v2, vcc, v24, v32
	v_addc_co_u32_e32 v3, vcc, 0, v29, vcc
	s_branch .LBB0_105
.LBB0_102:                              ;   in Loop: Header=BB0_105 Depth=2
	s_or_b64 exec, exec, s[14:15]
	v_readfirstlane_b32 s14, v6
	s_cmp_eq_u32 s14, 0
	s_cbranch_scc1 .LBB0_104
; %bb.103:                              ;   in Loop: Header=BB0_105 Depth=2
	s_sleep 1
	s_cbranch_execnz .LBB0_105
	s_branch .LBB0_107
.LBB0_104:                              ;   in Loop: Header=BB0_29 Depth=1
	s_branch .LBB0_107
.LBB0_105:                              ;   Parent Loop BB0_29 Depth=1
                                        ; =>  This Inner Loop Header: Depth=2
	v_mov_b32_e32 v6, 1
	s_and_saveexec_b64 s[14:15], s[0:1]
	s_cbranch_execz .LBB0_102
; %bb.106:                              ;   in Loop: Header=BB0_105 Depth=2
	global_load_dword v6, v[27:28], off offset:20 glc
	s_waitcnt vmcnt(0)
	buffer_wbinvl1_vol
	v_and_b32_e32 v6, 1, v6
	s_branch .LBB0_102
.LBB0_107:                              ;   in Loop: Header=BB0_29 Depth=1
	global_load_dwordx4 v[6:9], v[2:3], off
	s_and_saveexec_b64 s[14:15], s[0:1]
	s_cbranch_execz .LBB0_28
; %bb.108:                              ;   in Loop: Header=BB0_29 Depth=1
	global_load_dwordx2 v[2:3], v26, s[2:3] offset:40
	global_load_dwordx2 v[12:13], v26, s[2:3] offset:24 glc
	global_load_dwordx2 v[8:9], v26, s[2:3]
	s_waitcnt vmcnt(2)
	v_readfirstlane_b32 s16, v2
	v_readfirstlane_b32 s17, v3
	s_add_u32 s18, s16, 1
	s_addc_u32 s19, s17, 0
	s_add_u32 s0, s18, s12
	s_addc_u32 s1, s19, s13
	s_cmp_eq_u64 s[0:1], 0
	s_cselect_b32 s1, s19, s1
	s_cselect_b32 s0, s18, s0
	s_and_b64 s[12:13], s[0:1], s[16:17]
	s_mul_i32 s13, s13, 24
	s_mul_hi_u32 s16, s12, 24
	s_mul_i32 s12, s12, 24
	s_add_i32 s13, s16, s13
	v_mov_b32_e32 v3, s13
	s_waitcnt vmcnt(0)
	v_add_co_u32_e32 v2, vcc, s12, v8
	v_addc_co_u32_e32 v3, vcc, v9, v3, vcc
	v_mov_b32_e32 v10, s0
	global_store_dwordx2 v[2:3], v[12:13], off
	v_mov_b32_e32 v11, s1
	s_waitcnt vmcnt(0)
	global_atomic_cmpswap_x2 v[10:11], v26, v[10:13], s[2:3] offset:24 glc
	s_waitcnt vmcnt(0)
	v_cmp_ne_u64_e32 vcc, v[10:11], v[12:13]
	s_and_b64 exec, exec, vcc
	s_cbranch_execz .LBB0_28
; %bb.109:                              ;   in Loop: Header=BB0_29 Depth=1
	s_mov_b64 s[12:13], 0
.LBB0_110:                              ;   Parent Loop BB0_29 Depth=1
                                        ; =>  This Inner Loop Header: Depth=2
	s_sleep 1
	global_store_dwordx2 v[2:3], v[10:11], off
	v_mov_b32_e32 v8, s0
	v_mov_b32_e32 v9, s1
	s_waitcnt vmcnt(0)
	global_atomic_cmpswap_x2 v[8:9], v26, v[8:11], s[2:3] offset:24 glc
	s_waitcnt vmcnt(0)
	v_cmp_eq_u64_e32 vcc, v[8:9], v[10:11]
	v_mov_b32_e32 v11, v9
	s_or_b64 s[12:13], vcc, s[12:13]
	v_mov_b32_e32 v10, v8
	s_andn2_b64 exec, exec, s[12:13]
	s_cbranch_execnz .LBB0_110
	s_branch .LBB0_28
.LBB0_111:
	s_branch .LBB0_139
.LBB0_112:
	s_cbranch_execz .LBB0_139
; %bb.113:
	v_readfirstlane_b32 s0, v31
	s_waitcnt vmcnt(0)
	v_mov_b32_e32 v8, 0
	v_mov_b32_e32 v9, 0
	v_cmp_eq_u32_e64 s[0:1], s0, v31
	s_and_saveexec_b64 s[6:7], s[0:1]
	s_cbranch_execz .LBB0_119
; %bb.114:
	v_mov_b32_e32 v2, 0
	global_load_dwordx2 v[5:6], v2, s[2:3] offset:24 glc
	s_waitcnt vmcnt(0)
	buffer_wbinvl1_vol
	global_load_dwordx2 v[3:4], v2, s[2:3] offset:40
	global_load_dwordx2 v[7:8], v2, s[2:3]
	s_waitcnt vmcnt(1)
	v_and_b32_e32 v3, v3, v5
	v_and_b32_e32 v4, v4, v6
	v_mul_lo_u32 v4, v4, 24
	v_mul_hi_u32 v9, v3, 24
	v_mul_lo_u32 v3, v3, 24
	v_add_u32_e32 v4, v9, v4
	s_waitcnt vmcnt(0)
	v_add_co_u32_e32 v3, vcc, v7, v3
	v_addc_co_u32_e32 v4, vcc, v8, v4, vcc
	global_load_dwordx2 v[3:4], v[3:4], off glc
	s_waitcnt vmcnt(0)
	global_atomic_cmpswap_x2 v[8:9], v2, v[3:6], s[2:3] offset:24 glc
	s_waitcnt vmcnt(0)
	buffer_wbinvl1_vol
	v_cmp_ne_u64_e32 vcc, v[8:9], v[5:6]
	s_and_saveexec_b64 s[8:9], vcc
	s_cbranch_execz .LBB0_118
; %bb.115:
	s_mov_b64 s[10:11], 0
.LBB0_116:                              ; =>This Inner Loop Header: Depth=1
	s_sleep 1
	global_load_dwordx2 v[3:4], v2, s[2:3] offset:40
	global_load_dwordx2 v[10:11], v2, s[2:3]
	v_mov_b32_e32 v5, v8
	v_mov_b32_e32 v6, v9
	s_waitcnt vmcnt(1)
	v_and_b32_e32 v3, v3, v5
	s_waitcnt vmcnt(0)
	v_mad_u64_u32 v[7:8], s[12:13], v3, 24, v[10:11]
	v_and_b32_e32 v4, v4, v6
	v_mov_b32_e32 v3, v8
	v_mad_u64_u32 v[3:4], s[12:13], v4, 24, v[3:4]
	v_mov_b32_e32 v8, v3
	global_load_dwordx2 v[3:4], v[7:8], off glc
	s_waitcnt vmcnt(0)
	global_atomic_cmpswap_x2 v[8:9], v2, v[3:6], s[2:3] offset:24 glc
	s_waitcnt vmcnt(0)
	buffer_wbinvl1_vol
	v_cmp_eq_u64_e32 vcc, v[8:9], v[5:6]
	s_or_b64 s[10:11], vcc, s[10:11]
	s_andn2_b64 exec, exec, s[10:11]
	s_cbranch_execnz .LBB0_116
; %bb.117:
	s_or_b64 exec, exec, s[10:11]
.LBB0_118:
	s_or_b64 exec, exec, s[8:9]
.LBB0_119:
	s_or_b64 exec, exec, s[6:7]
	v_mov_b32_e32 v2, 0
	global_load_dwordx2 v[10:11], v2, s[2:3] offset:40
	global_load_dwordx4 v[4:7], v2, s[2:3]
	v_readfirstlane_b32 s7, v9
	v_readfirstlane_b32 s6, v8
	s_mov_b64 s[8:9], exec
	s_waitcnt vmcnt(1)
	v_readfirstlane_b32 s10, v10
	v_readfirstlane_b32 s11, v11
	s_and_b64 s[10:11], s[10:11], s[6:7]
	s_mul_i32 s12, s11, 24
	s_mul_hi_u32 s13, s10, 24
	s_mul_i32 s14, s10, 24
	s_add_i32 s12, s13, s12
	v_mov_b32_e32 v3, s12
	s_waitcnt vmcnt(0)
	v_add_co_u32_e32 v8, vcc, s14, v4
	v_addc_co_u32_e32 v9, vcc, v5, v3, vcc
	s_and_saveexec_b64 s[12:13], s[0:1]
	s_cbranch_execz .LBB0_121
; %bb.120:
	v_mov_b32_e32 v11, s9
	v_mov_b32_e32 v10, s8
	;; [unrolled: 1-line block ×4, first 2 shown]
	global_store_dwordx4 v[8:9], v[10:13], off offset:8
.LBB0_121:
	s_or_b64 exec, exec, s[12:13]
	s_lshl_b64 s[8:9], s[10:11], 12
	v_mov_b32_e32 v3, s9
	v_add_co_u32_e32 v6, vcc, s8, v6
	v_addc_co_u32_e32 v7, vcc, v7, v3, vcc
	s_movk_i32 s8, 0xff1d
	v_and_or_b32 v0, v0, s8, 34
	s_mov_b32 s8, 0
	v_mov_b32_e32 v3, v2
	v_readfirstlane_b32 s12, v6
	v_readfirstlane_b32 s13, v7
	s_mov_b32 s9, s8
	s_mov_b32 s10, s8
	;; [unrolled: 1-line block ×3, first 2 shown]
	s_nop 1
	global_store_dwordx4 v32, v[0:3], s[12:13]
	s_nop 0
	v_mov_b32_e32 v0, s8
	v_mov_b32_e32 v1, s9
	;; [unrolled: 1-line block ×4, first 2 shown]
	global_store_dwordx4 v32, v[0:3], s[12:13] offset:16
	global_store_dwordx4 v32, v[0:3], s[12:13] offset:32
	;; [unrolled: 1-line block ×3, first 2 shown]
	s_and_saveexec_b64 s[8:9], s[0:1]
	s_cbranch_execz .LBB0_129
; %bb.122:
	v_mov_b32_e32 v6, 0
	global_load_dwordx2 v[12:13], v6, s[2:3] offset:32 glc
	global_load_dwordx2 v[0:1], v6, s[2:3] offset:40
	v_mov_b32_e32 v10, s6
	v_mov_b32_e32 v11, s7
	s_waitcnt vmcnt(0)
	v_readfirstlane_b32 s10, v0
	v_readfirstlane_b32 s11, v1
	s_and_b64 s[10:11], s[10:11], s[6:7]
	s_mul_i32 s11, s11, 24
	s_mul_hi_u32 s12, s10, 24
	s_mul_i32 s10, s10, 24
	s_add_i32 s11, s12, s11
	v_mov_b32_e32 v0, s11
	v_add_co_u32_e32 v4, vcc, s10, v4
	v_addc_co_u32_e32 v5, vcc, v5, v0, vcc
	global_store_dwordx2 v[4:5], v[12:13], off
	s_waitcnt vmcnt(0)
	global_atomic_cmpswap_x2 v[2:3], v6, v[10:13], s[2:3] offset:32 glc
	s_waitcnt vmcnt(0)
	v_cmp_ne_u64_e32 vcc, v[2:3], v[12:13]
	s_and_saveexec_b64 s[10:11], vcc
	s_cbranch_execz .LBB0_125
; %bb.123:
	s_mov_b64 s[12:13], 0
.LBB0_124:                              ; =>This Inner Loop Header: Depth=1
	s_sleep 1
	global_store_dwordx2 v[4:5], v[2:3], off
	v_mov_b32_e32 v0, s6
	v_mov_b32_e32 v1, s7
	s_waitcnt vmcnt(0)
	global_atomic_cmpswap_x2 v[0:1], v6, v[0:3], s[2:3] offset:32 glc
	s_waitcnt vmcnt(0)
	v_cmp_eq_u64_e32 vcc, v[0:1], v[2:3]
	v_mov_b32_e32 v3, v1
	s_or_b64 s[12:13], vcc, s[12:13]
	v_mov_b32_e32 v2, v0
	s_andn2_b64 exec, exec, s[12:13]
	s_cbranch_execnz .LBB0_124
.LBB0_125:
	s_or_b64 exec, exec, s[10:11]
	v_mov_b32_e32 v3, 0
	global_load_dwordx2 v[0:1], v3, s[2:3] offset:16
	s_mov_b64 s[10:11], exec
	v_mbcnt_lo_u32_b32 v2, s10, 0
	v_mbcnt_hi_u32_b32 v2, s11, v2
	v_cmp_eq_u32_e32 vcc, 0, v2
	s_and_saveexec_b64 s[12:13], vcc
	s_cbranch_execz .LBB0_127
; %bb.126:
	s_bcnt1_i32_b64 s10, s[10:11]
	v_mov_b32_e32 v2, s10
	s_waitcnt vmcnt(0)
	global_atomic_add_x2 v[0:1], v[2:3], off offset:8
.LBB0_127:
	s_or_b64 exec, exec, s[12:13]
	s_waitcnt vmcnt(0)
	global_load_dwordx2 v[2:3], v[0:1], off offset:16
	s_waitcnt vmcnt(0)
	v_cmp_eq_u64_e32 vcc, 0, v[2:3]
	s_cbranch_vccnz .LBB0_129
; %bb.128:
	global_load_dword v0, v[0:1], off offset:24
	v_mov_b32_e32 v1, 0
	s_waitcnt vmcnt(0)
	v_readfirstlane_b32 s10, v0
	s_and_b32 m0, s10, 0xffffff
	global_store_dwordx2 v[2:3], v[0:1], off
	s_sendmsg sendmsg(MSG_INTERRUPT)
.LBB0_129:
	s_or_b64 exec, exec, s[8:9]
	s_branch .LBB0_133
.LBB0_130:                              ;   in Loop: Header=BB0_133 Depth=1
	s_or_b64 exec, exec, s[8:9]
	v_readfirstlane_b32 s8, v0
	s_cmp_eq_u32 s8, 0
	s_cbranch_scc1 .LBB0_132
; %bb.131:                              ;   in Loop: Header=BB0_133 Depth=1
	s_sleep 1
	s_cbranch_execnz .LBB0_133
	s_branch .LBB0_135
.LBB0_132:
	s_branch .LBB0_135
.LBB0_133:                              ; =>This Inner Loop Header: Depth=1
	v_mov_b32_e32 v0, 1
	s_and_saveexec_b64 s[8:9], s[0:1]
	s_cbranch_execz .LBB0_130
; %bb.134:                              ;   in Loop: Header=BB0_133 Depth=1
	global_load_dword v0, v[8:9], off offset:20 glc
	s_waitcnt vmcnt(0)
	buffer_wbinvl1_vol
	v_and_b32_e32 v0, 1, v0
	s_branch .LBB0_130
.LBB0_135:
	s_and_saveexec_b64 s[8:9], s[0:1]
	s_cbranch_execz .LBB0_138
; %bb.136:
	v_mov_b32_e32 v6, 0
	global_load_dwordx2 v[0:1], v6, s[2:3] offset:40
	global_load_dwordx2 v[9:10], v6, s[2:3] offset:24 glc
	global_load_dwordx2 v[2:3], v6, s[2:3]
	s_waitcnt vmcnt(2)
	v_readfirstlane_b32 s10, v0
	v_readfirstlane_b32 s11, v1
	s_add_u32 s12, s10, 1
	s_addc_u32 s13, s11, 0
	s_add_u32 s0, s12, s6
	s_addc_u32 s1, s13, s7
	s_cmp_eq_u64 s[0:1], 0
	s_cselect_b32 s1, s13, s1
	s_cselect_b32 s0, s12, s0
	s_and_b64 s[6:7], s[0:1], s[10:11]
	s_mul_i32 s7, s7, 24
	s_mul_hi_u32 s10, s6, 24
	s_mul_i32 s6, s6, 24
	s_add_i32 s7, s10, s7
	v_mov_b32_e32 v0, s7
	s_waitcnt vmcnt(0)
	v_add_co_u32_e32 v4, vcc, s6, v2
	v_addc_co_u32_e32 v5, vcc, v3, v0, vcc
	v_mov_b32_e32 v7, s0
	global_store_dwordx2 v[4:5], v[9:10], off
	v_mov_b32_e32 v8, s1
	s_waitcnt vmcnt(0)
	global_atomic_cmpswap_x2 v[2:3], v6, v[7:10], s[2:3] offset:24 glc
	s_mov_b64 s[6:7], 0
	s_waitcnt vmcnt(0)
	v_cmp_ne_u64_e32 vcc, v[2:3], v[9:10]
	s_and_b64 exec, exec, vcc
	s_cbranch_execz .LBB0_138
.LBB0_137:                              ; =>This Inner Loop Header: Depth=1
	s_sleep 1
	global_store_dwordx2 v[4:5], v[2:3], off
	v_mov_b32_e32 v0, s0
	v_mov_b32_e32 v1, s1
	s_waitcnt vmcnt(0)
	global_atomic_cmpswap_x2 v[0:1], v6, v[0:3], s[2:3] offset:24 glc
	s_waitcnt vmcnt(0)
	v_cmp_eq_u64_e32 vcc, v[0:1], v[2:3]
	v_mov_b32_e32 v3, v1
	s_or_b64 s[6:7], vcc, s[6:7]
	v_mov_b32_e32 v2, v0
	s_andn2_b64 exec, exec, s[6:7]
	s_cbranch_execnz .LBB0_137
.LBB0_138:
	s_or_b64 exec, exec, s[8:9]
.LBB0_139:
	s_load_dwordx4 s[8:11], s[4:5], 0x18
	s_load_dwordx4 s[12:15], s[4:5], 0x0
	s_load_dwordx2 s[16:17], s[4:5], 0x10
	s_waitcnt lgkmcnt(0)
	s_add_i32 s18, s8, 1
	s_cmp_ge_i32 s18, s10
	s_cbranch_scc1 .LBB0_876
; %bb.140:
	s_getpc_b64 s[0:1]
	s_add_u32 s0, s0, .str.1@rel32@lo+4
	s_addc_u32 s1, s1, .str.1@rel32@hi+12
	s_cmp_lg_u64 s[0:1], 0
	s_cselect_b64 s[20:21], -1, 0
	s_getpc_b64 s[0:1]
	s_add_u32 s0, s0, .str.2@rel32@lo+4
	s_addc_u32 s1, s1, .str.2@rel32@hi+12
	s_cmp_lg_u64 s[0:1], 0
	s_cselect_b64 s[22:23], -1, 0
	s_getpc_b64 s[0:1]
	s_add_u32 s0, s0, .str.5@rel32@lo+4
	s_addc_u32 s1, s1, .str.5@rel32@hi+12
	s_cmp_lg_u64 s[0:1], 0
	s_mov_b32 s4, 0
	s_cselect_b64 s[24:25], -1, 0
	v_mov_b32_e32 v2, 0
	s_mov_b32 s5, s4
	s_mov_b32 s6, s4
	;; [unrolled: 1-line block ×3, first 2 shown]
	s_movk_i32 s8, 0xff1f
	s_movk_i32 s11, 0xff1d
	v_mov_b32_e32 v5, 2
	s_waitcnt vmcnt(0)
	v_mov_b32_e32 v6, 1
	v_mov_b32_e32 v0, 33
	s_branch .LBB0_142
.LBB0_141:                              ;   in Loop: Header=BB0_142 Depth=1
	s_or_b64 exec, exec, s[28:29]
	s_add_i32 s18, s18, 1
	s_cmp_ge_i32 s18, s10
	s_cbranch_scc1 .LBB0_876
.LBB0_142:                              ; =>This Loop Header: Depth=1
                                        ;     Child Loop BB0_145 Depth 2
                                        ;     Child Loop BB0_153 Depth 2
	;; [unrolled: 1-line block ×9, first 2 shown]
                                        ;       Child Loop BB0_174 Depth 3
                                        ;       Child Loop BB0_182 Depth 3
	;; [unrolled: 1-line block ×11, first 2 shown]
                                        ;     Child Loop BB0_285 Depth 2
                                        ;     Child Loop BB0_293 Depth 2
	;; [unrolled: 1-line block ×13, first 2 shown]
                                        ;       Child Loop BB0_340 Depth 3
                                        ;       Child Loop BB0_348 Depth 3
	;; [unrolled: 1-line block ×11, first 2 shown]
                                        ;     Child Loop BB0_450 Depth 2
                                        ;     Child Loop BB0_542 Depth 2
	;; [unrolled: 1-line block ×6, first 2 shown]
                                        ;       Child Loop BB0_458 Depth 3
                                        ;       Child Loop BB0_466 Depth 3
	;; [unrolled: 1-line block ×11, first 2 shown]
                                        ;     Child Loop BB0_569 Depth 2
                                        ;     Child Loop BB0_577 Depth 2
	;; [unrolled: 1-line block ×13, first 2 shown]
                                        ;       Child Loop BB0_624 Depth 3
                                        ;       Child Loop BB0_632 Depth 3
	;; [unrolled: 1-line block ×11, first 2 shown]
                                        ;     Child Loop BB0_734 Depth 2
                                        ;     Child Loop BB0_826 Depth 2
	;; [unrolled: 1-line block ×6, first 2 shown]
                                        ;       Child Loop BB0_742 Depth 3
                                        ;       Child Loop BB0_750 Depth 3
	;; [unrolled: 1-line block ×11, first 2 shown]
                                        ;     Child Loop BB0_853 Depth 2
                                        ;     Child Loop BB0_861 Depth 2
	;; [unrolled: 1-line block ×4, first 2 shown]
	s_ashr_i32 s19, s18, 31
	s_lshl_b64 s[0:1], s[18:19], 2
	s_add_u32 s26, s12, s0
	s_addc_u32 s27, s13, s1
	s_add_u32 s0, s14, s0
	s_addc_u32 s1, s15, s1
	global_load_dword v1, v2, s[26:27]
	global_load_dword v7, v2, s[0:1]
	v_readfirstlane_b32 s0, v31
	v_mov_b32_e32 v3, 0
	v_mov_b32_e32 v4, 0
	v_cmp_eq_u32_e64 s[0:1], s0, v31
	s_waitcnt vmcnt(1)
	v_readfirstlane_b32 s33, v1
	s_waitcnt vmcnt(0)
	v_readfirstlane_b32 s19, v7
	s_and_saveexec_b64 s[26:27], s[0:1]
	s_cbranch_execz .LBB0_148
; %bb.143:                              ;   in Loop: Header=BB0_142 Depth=1
	global_load_dwordx2 v[9:10], v2, s[2:3] offset:24 glc
	s_waitcnt vmcnt(0)
	buffer_wbinvl1_vol
	global_load_dwordx2 v[3:4], v2, s[2:3] offset:40
	global_load_dwordx2 v[7:8], v2, s[2:3]
	s_waitcnt vmcnt(1)
	v_and_b32_e32 v1, v3, v9
	v_and_b32_e32 v3, v4, v10
	v_mul_lo_u32 v3, v3, 24
	v_mul_hi_u32 v4, v1, 24
	v_mul_lo_u32 v1, v1, 24
	v_add_u32_e32 v4, v4, v3
	s_waitcnt vmcnt(0)
	v_add_co_u32_e32 v3, vcc, v7, v1
	v_addc_co_u32_e32 v4, vcc, v8, v4, vcc
	global_load_dwordx2 v[7:8], v[3:4], off glc
	s_waitcnt vmcnt(0)
	global_atomic_cmpswap_x2 v[3:4], v2, v[7:10], s[2:3] offset:24 glc
	s_waitcnt vmcnt(0)
	buffer_wbinvl1_vol
	v_cmp_ne_u64_e32 vcc, v[3:4], v[9:10]
	s_and_saveexec_b64 s[28:29], vcc
	s_cbranch_execz .LBB0_147
; %bb.144:                              ;   in Loop: Header=BB0_142 Depth=1
	s_mov_b64 s[30:31], 0
.LBB0_145:                              ;   Parent Loop BB0_142 Depth=1
                                        ; =>  This Inner Loop Header: Depth=2
	s_sleep 1
	global_load_dwordx2 v[7:8], v2, s[2:3] offset:40
	global_load_dwordx2 v[11:12], v2, s[2:3]
	v_mov_b32_e32 v10, v4
	v_mov_b32_e32 v9, v3
	s_waitcnt vmcnt(1)
	v_and_b32_e32 v1, v7, v9
	s_waitcnt vmcnt(0)
	v_mad_u64_u32 v[3:4], s[34:35], v1, 24, v[11:12]
	v_and_b32_e32 v7, v8, v10
	v_mov_b32_e32 v1, v4
	v_mad_u64_u32 v[7:8], s[34:35], v7, 24, v[1:2]
	v_mov_b32_e32 v4, v7
	global_load_dwordx2 v[7:8], v[3:4], off glc
	s_waitcnt vmcnt(0)
	global_atomic_cmpswap_x2 v[3:4], v2, v[7:10], s[2:3] offset:24 glc
	s_waitcnt vmcnt(0)
	buffer_wbinvl1_vol
	v_cmp_eq_u64_e32 vcc, v[3:4], v[9:10]
	s_or_b64 s[30:31], vcc, s[30:31]
	s_andn2_b64 exec, exec, s[30:31]
	s_cbranch_execnz .LBB0_145
; %bb.146:                              ;   in Loop: Header=BB0_142 Depth=1
	s_or_b64 exec, exec, s[30:31]
.LBB0_147:                              ;   in Loop: Header=BB0_142 Depth=1
	s_or_b64 exec, exec, s[28:29]
.LBB0_148:                              ;   in Loop: Header=BB0_142 Depth=1
	s_or_b64 exec, exec, s[26:27]
	global_load_dwordx2 v[11:12], v2, s[2:3] offset:40
	global_load_dwordx4 v[7:10], v2, s[2:3]
	v_readfirstlane_b32 s27, v4
	v_readfirstlane_b32 s26, v3
	s_mov_b64 s[28:29], exec
	s_waitcnt vmcnt(1)
	v_readfirstlane_b32 s30, v11
	v_readfirstlane_b32 s31, v12
	s_and_b64 s[30:31], s[30:31], s[26:27]
	s_mul_i32 s34, s31, 24
	s_mul_hi_u32 s35, s30, 24
	s_mul_i32 s36, s30, 24
	s_add_i32 s34, s35, s34
	v_mov_b32_e32 v1, s34
	s_waitcnt vmcnt(0)
	v_add_co_u32_e32 v11, vcc, s36, v7
	v_addc_co_u32_e32 v12, vcc, v8, v1, vcc
	s_and_saveexec_b64 s[34:35], s[0:1]
	s_cbranch_execz .LBB0_150
; %bb.149:                              ;   in Loop: Header=BB0_142 Depth=1
	v_mov_b32_e32 v3, s28
	v_mov_b32_e32 v4, s29
	global_store_dwordx4 v[11:12], v[3:6], off offset:8
.LBB0_150:                              ;   in Loop: Header=BB0_142 Depth=1
	s_or_b64 exec, exec, s[34:35]
	s_lshl_b64 s[28:29], s[30:31], 12
	v_mov_b32_e32 v1, s29
	v_add_co_u32_e32 v13, vcc, s28, v9
	v_addc_co_u32_e32 v14, vcc, v10, v1, vcc
	v_mov_b32_e32 v18, s7
	v_mov_b32_e32 v1, v2
	;; [unrolled: 1-line block ×3, first 2 shown]
	v_readfirstlane_b32 s28, v13
	v_readfirstlane_b32 s29, v14
	v_mov_b32_e32 v17, s6
	v_mov_b32_e32 v16, s5
	;; [unrolled: 1-line block ×3, first 2 shown]
	s_nop 1
	global_store_dwordx4 v32, v[0:3], s[28:29]
	global_store_dwordx4 v32, v[15:18], s[28:29] offset:16
	global_store_dwordx4 v32, v[15:18], s[28:29] offset:32
	;; [unrolled: 1-line block ×3, first 2 shown]
	s_and_saveexec_b64 s[28:29], s[0:1]
	s_cbranch_execz .LBB0_158
; %bb.151:                              ;   in Loop: Header=BB0_142 Depth=1
	global_load_dwordx2 v[17:18], v2, s[2:3] offset:32 glc
	global_load_dwordx2 v[3:4], v2, s[2:3] offset:40
	v_mov_b32_e32 v15, s26
	v_mov_b32_e32 v16, s27
	s_waitcnt vmcnt(0)
	v_readfirstlane_b32 s30, v3
	v_readfirstlane_b32 s31, v4
	s_and_b64 s[30:31], s[30:31], s[26:27]
	s_mul_i32 s31, s31, 24
	s_mul_hi_u32 s34, s30, 24
	s_mul_i32 s30, s30, 24
	s_add_i32 s31, s34, s31
	v_mov_b32_e32 v1, s31
	v_add_co_u32_e32 v3, vcc, s30, v7
	v_addc_co_u32_e32 v4, vcc, v8, v1, vcc
	global_store_dwordx2 v[3:4], v[17:18], off
	s_waitcnt vmcnt(0)
	global_atomic_cmpswap_x2 v[9:10], v2, v[15:18], s[2:3] offset:32 glc
	s_waitcnt vmcnt(0)
	v_cmp_ne_u64_e32 vcc, v[9:10], v[17:18]
	s_and_saveexec_b64 s[30:31], vcc
	s_cbranch_execz .LBB0_154
; %bb.152:                              ;   in Loop: Header=BB0_142 Depth=1
	s_mov_b64 s[34:35], 0
.LBB0_153:                              ;   Parent Loop BB0_142 Depth=1
                                        ; =>  This Inner Loop Header: Depth=2
	s_sleep 1
	global_store_dwordx2 v[3:4], v[9:10], off
	v_mov_b32_e32 v7, s26
	v_mov_b32_e32 v8, s27
	s_waitcnt vmcnt(0)
	global_atomic_cmpswap_x2 v[7:8], v2, v[7:10], s[2:3] offset:32 glc
	s_waitcnt vmcnt(0)
	v_cmp_eq_u64_e32 vcc, v[7:8], v[9:10]
	v_mov_b32_e32 v10, v8
	s_or_b64 s[34:35], vcc, s[34:35]
	v_mov_b32_e32 v9, v7
	s_andn2_b64 exec, exec, s[34:35]
	s_cbranch_execnz .LBB0_153
.LBB0_154:                              ;   in Loop: Header=BB0_142 Depth=1
	s_or_b64 exec, exec, s[30:31]
	global_load_dwordx2 v[3:4], v2, s[2:3] offset:16
	s_mov_b64 s[34:35], exec
	v_mbcnt_lo_u32_b32 v1, s34, 0
	v_mbcnt_hi_u32_b32 v1, s35, v1
	v_cmp_eq_u32_e32 vcc, 0, v1
	s_and_saveexec_b64 s[30:31], vcc
	s_cbranch_execz .LBB0_156
; %bb.155:                              ;   in Loop: Header=BB0_142 Depth=1
	s_bcnt1_i32_b64 s34, s[34:35]
	v_mov_b32_e32 v1, s34
	s_waitcnt vmcnt(0)
	global_atomic_add_x2 v[3:4], v[1:2], off offset:8
.LBB0_156:                              ;   in Loop: Header=BB0_142 Depth=1
	s_or_b64 exec, exec, s[30:31]
	s_waitcnt vmcnt(0)
	global_load_dwordx2 v[7:8], v[3:4], off offset:16
	s_waitcnt vmcnt(0)
	v_cmp_eq_u64_e32 vcc, 0, v[7:8]
	s_cbranch_vccnz .LBB0_158
; %bb.157:                              ;   in Loop: Header=BB0_142 Depth=1
	global_load_dword v1, v[3:4], off offset:24
	s_waitcnt vmcnt(0)
	v_readfirstlane_b32 s30, v1
	s_and_b32 m0, s30, 0xffffff
	global_store_dwordx2 v[7:8], v[1:2], off
	s_sendmsg sendmsg(MSG_INTERRUPT)
.LBB0_158:                              ;   in Loop: Header=BB0_142 Depth=1
	s_or_b64 exec, exec, s[28:29]
	v_add_co_u32_e32 v3, vcc, v13, v32
	v_addc_co_u32_e32 v4, vcc, 0, v14, vcc
	s_branch .LBB0_162
.LBB0_159:                              ;   in Loop: Header=BB0_162 Depth=2
	s_or_b64 exec, exec, s[28:29]
	v_readfirstlane_b32 s28, v1
	s_cmp_eq_u32 s28, 0
	s_cbranch_scc1 .LBB0_161
; %bb.160:                              ;   in Loop: Header=BB0_162 Depth=2
	s_sleep 1
	s_cbranch_execnz .LBB0_162
	s_branch .LBB0_164
.LBB0_161:                              ;   in Loop: Header=BB0_142 Depth=1
	s_branch .LBB0_164
.LBB0_162:                              ;   Parent Loop BB0_142 Depth=1
                                        ; =>  This Inner Loop Header: Depth=2
	v_mov_b32_e32 v1, 1
	s_and_saveexec_b64 s[28:29], s[0:1]
	s_cbranch_execz .LBB0_159
; %bb.163:                              ;   in Loop: Header=BB0_162 Depth=2
	global_load_dword v1, v[11:12], off offset:20 glc
	s_waitcnt vmcnt(0)
	buffer_wbinvl1_vol
	v_and_b32_e32 v1, 1, v1
	s_branch .LBB0_159
.LBB0_164:                              ;   in Loop: Header=BB0_142 Depth=1
	global_load_dwordx2 v[7:8], v[3:4], off
	s_and_saveexec_b64 s[28:29], s[0:1]
	s_cbranch_execz .LBB0_168
; %bb.165:                              ;   in Loop: Header=BB0_142 Depth=1
	global_load_dwordx2 v[3:4], v2, s[2:3] offset:40
	global_load_dwordx2 v[13:14], v2, s[2:3] offset:24 glc
	global_load_dwordx2 v[9:10], v2, s[2:3]
	s_waitcnt vmcnt(2)
	v_readfirstlane_b32 s30, v3
	v_readfirstlane_b32 s31, v4
	s_add_u32 s34, s30, 1
	s_addc_u32 s35, s31, 0
	s_add_u32 s0, s34, s26
	s_addc_u32 s1, s35, s27
	s_cmp_eq_u64 s[0:1], 0
	s_cselect_b32 s1, s35, s1
	s_cselect_b32 s0, s34, s0
	s_and_b64 s[26:27], s[0:1], s[30:31]
	s_mul_i32 s27, s27, 24
	s_mul_hi_u32 s30, s26, 24
	s_mul_i32 s26, s26, 24
	s_add_i32 s27, s30, s27
	v_mov_b32_e32 v1, s27
	s_waitcnt vmcnt(0)
	v_add_co_u32_e32 v3, vcc, s26, v9
	v_addc_co_u32_e32 v4, vcc, v10, v1, vcc
	v_mov_b32_e32 v11, s0
	global_store_dwordx2 v[3:4], v[13:14], off
	v_mov_b32_e32 v12, s1
	s_waitcnt vmcnt(0)
	global_atomic_cmpswap_x2 v[11:12], v2, v[11:14], s[2:3] offset:24 glc
	s_waitcnt vmcnt(0)
	v_cmp_ne_u64_e32 vcc, v[11:12], v[13:14]
	s_and_b64 exec, exec, vcc
	s_cbranch_execz .LBB0_168
; %bb.166:                              ;   in Loop: Header=BB0_142 Depth=1
	s_mov_b64 s[26:27], 0
.LBB0_167:                              ;   Parent Loop BB0_142 Depth=1
                                        ; =>  This Inner Loop Header: Depth=2
	s_sleep 1
	global_store_dwordx2 v[3:4], v[11:12], off
	v_mov_b32_e32 v9, s0
	v_mov_b32_e32 v10, s1
	s_waitcnt vmcnt(0)
	global_atomic_cmpswap_x2 v[9:10], v2, v[9:12], s[2:3] offset:24 glc
	s_waitcnt vmcnt(0)
	v_cmp_eq_u64_e32 vcc, v[9:10], v[11:12]
	v_mov_b32_e32 v12, v10
	s_or_b64 s[26:27], vcc, s[26:27]
	v_mov_b32_e32 v11, v9
	s_andn2_b64 exec, exec, s[26:27]
	s_cbranch_execnz .LBB0_167
.LBB0_168:                              ;   in Loop: Header=BB0_142 Depth=1
	s_or_b64 exec, exec, s[28:29]
	s_and_b64 vcc, exec, s[20:21]
	s_cbranch_vccz .LBB0_254
; %bb.169:                              ;   in Loop: Header=BB0_142 Depth=1
	s_waitcnt vmcnt(0)
	v_and_b32_e32 v9, -3, v7
	v_mov_b32_e32 v10, v8
	s_mov_b64 s[28:29], 4
	s_getpc_b64 s[26:27]
	s_add_u32 s26, s26, .str.1@rel32@lo+4
	s_addc_u32 s27, s27, .str.1@rel32@hi+12
	s_branch .LBB0_171
.LBB0_170:                              ;   in Loop: Header=BB0_171 Depth=2
	s_or_b64 exec, exec, s[36:37]
	s_sub_u32 s28, s28, s30
	s_subb_u32 s29, s29, s31
	s_add_u32 s26, s26, s30
	s_addc_u32 s27, s27, s31
	s_cmp_lg_u64 s[28:29], 0
	s_cbranch_scc0 .LBB0_253
.LBB0_171:                              ;   Parent Loop BB0_142 Depth=1
                                        ; =>  This Loop Header: Depth=2
                                        ;       Child Loop BB0_174 Depth 3
                                        ;       Child Loop BB0_182 Depth 3
	;; [unrolled: 1-line block ×11, first 2 shown]
	v_cmp_lt_u64_e64 s[0:1], s[28:29], 56
	v_cmp_gt_u64_e64 s[34:35], s[28:29], 7
	s_and_b64 s[0:1], s[0:1], exec
	s_cselect_b32 s31, s29, 0
	s_cselect_b32 s30, s28, 56
	s_add_u32 s0, s26, 8
	s_addc_u32 s1, s27, 0
	s_and_b64 vcc, exec, s[34:35]
	s_cbranch_vccnz .LBB0_175
; %bb.172:                              ;   in Loop: Header=BB0_171 Depth=2
	s_cmp_eq_u64 s[28:29], 0
	s_cbranch_scc1 .LBB0_176
; %bb.173:                              ;   in Loop: Header=BB0_171 Depth=2
	v_mov_b32_e32 v11, 0
	s_lshl_b64 s[0:1], s[30:31], 3
	s_mov_b64 s[34:35], 0
	v_mov_b32_e32 v12, 0
	s_mov_b64 s[36:37], s[26:27]
.LBB0_174:                              ;   Parent Loop BB0_142 Depth=1
                                        ;     Parent Loop BB0_171 Depth=2
                                        ; =>    This Inner Loop Header: Depth=3
	global_load_ubyte v1, v2, s[36:37]
	s_waitcnt vmcnt(0)
	v_and_b32_e32 v1, 0xffff, v1
	v_lshlrev_b64 v[3:4], s34, v[1:2]
	s_add_u32 s34, s34, 8
	s_addc_u32 s35, s35, 0
	s_add_u32 s36, s36, 1
	s_addc_u32 s37, s37, 0
	v_or_b32_e32 v11, v3, v11
	s_cmp_lg_u32 s0, s34
	v_or_b32_e32 v12, v4, v12
	s_cbranch_scc1 .LBB0_174
	s_branch .LBB0_177
.LBB0_175:                              ;   in Loop: Header=BB0_171 Depth=2
	s_mov_b32 s38, 0
	s_branch .LBB0_178
.LBB0_176:                              ;   in Loop: Header=BB0_171 Depth=2
	v_mov_b32_e32 v11, 0
	v_mov_b32_e32 v12, 0
.LBB0_177:                              ;   in Loop: Header=BB0_171 Depth=2
	s_mov_b64 s[0:1], s[26:27]
	s_mov_b32 s38, 0
	s_cbranch_execnz .LBB0_179
.LBB0_178:                              ;   in Loop: Header=BB0_171 Depth=2
	global_load_dwordx2 v[11:12], v2, s[26:27]
	s_add_i32 s38, s30, -8
.LBB0_179:                              ;   in Loop: Header=BB0_171 Depth=2
	s_add_u32 s34, s0, 8
	s_addc_u32 s35, s1, 0
	s_cmp_gt_u32 s38, 7
	s_cbranch_scc1 .LBB0_183
; %bb.180:                              ;   in Loop: Header=BB0_171 Depth=2
	s_cmp_eq_u32 s38, 0
	s_cbranch_scc1 .LBB0_184
; %bb.181:                              ;   in Loop: Header=BB0_171 Depth=2
	v_mov_b32_e32 v13, 0
	s_mov_b64 s[34:35], 0
	v_mov_b32_e32 v14, 0
	s_mov_b64 s[36:37], 0
.LBB0_182:                              ;   Parent Loop BB0_142 Depth=1
                                        ;     Parent Loop BB0_171 Depth=2
                                        ; =>    This Inner Loop Header: Depth=3
	s_add_u32 s40, s0, s36
	s_addc_u32 s41, s1, s37
	global_load_ubyte v1, v2, s[40:41]
	s_add_u32 s36, s36, 1
	s_addc_u32 s37, s37, 0
	s_waitcnt vmcnt(0)
	v_and_b32_e32 v1, 0xffff, v1
	v_lshlrev_b64 v[3:4], s34, v[1:2]
	s_add_u32 s34, s34, 8
	s_addc_u32 s35, s35, 0
	v_or_b32_e32 v13, v3, v13
	s_cmp_lg_u32 s38, s36
	v_or_b32_e32 v14, v4, v14
	s_cbranch_scc1 .LBB0_182
	s_branch .LBB0_185
.LBB0_183:                              ;   in Loop: Header=BB0_171 Depth=2
                                        ; implicit-def: $vgpr13_vgpr14
	s_mov_b32 s39, 0
	s_branch .LBB0_186
.LBB0_184:                              ;   in Loop: Header=BB0_171 Depth=2
	v_mov_b32_e32 v13, 0
	v_mov_b32_e32 v14, 0
.LBB0_185:                              ;   in Loop: Header=BB0_171 Depth=2
	s_mov_b64 s[34:35], s[0:1]
	s_mov_b32 s39, 0
	s_cbranch_execnz .LBB0_187
.LBB0_186:                              ;   in Loop: Header=BB0_171 Depth=2
	global_load_dwordx2 v[13:14], v2, s[0:1]
	s_add_i32 s39, s38, -8
.LBB0_187:                              ;   in Loop: Header=BB0_171 Depth=2
	s_add_u32 s0, s34, 8
	s_addc_u32 s1, s35, 0
	s_cmp_gt_u32 s39, 7
	s_cbranch_scc1 .LBB0_191
; %bb.188:                              ;   in Loop: Header=BB0_171 Depth=2
	s_cmp_eq_u32 s39, 0
	s_cbranch_scc1 .LBB0_192
; %bb.189:                              ;   in Loop: Header=BB0_171 Depth=2
	v_mov_b32_e32 v15, 0
	s_mov_b64 s[0:1], 0
	v_mov_b32_e32 v16, 0
	s_mov_b64 s[36:37], 0
.LBB0_190:                              ;   Parent Loop BB0_142 Depth=1
                                        ;     Parent Loop BB0_171 Depth=2
                                        ; =>    This Inner Loop Header: Depth=3
	s_add_u32 s40, s34, s36
	s_addc_u32 s41, s35, s37
	global_load_ubyte v1, v2, s[40:41]
	s_add_u32 s36, s36, 1
	s_addc_u32 s37, s37, 0
	s_waitcnt vmcnt(0)
	v_and_b32_e32 v1, 0xffff, v1
	v_lshlrev_b64 v[3:4], s0, v[1:2]
	s_add_u32 s0, s0, 8
	s_addc_u32 s1, s1, 0
	v_or_b32_e32 v15, v3, v15
	s_cmp_lg_u32 s39, s36
	v_or_b32_e32 v16, v4, v16
	s_cbranch_scc1 .LBB0_190
	s_branch .LBB0_193
.LBB0_191:                              ;   in Loop: Header=BB0_171 Depth=2
	s_mov_b32 s38, 0
	s_branch .LBB0_194
.LBB0_192:                              ;   in Loop: Header=BB0_171 Depth=2
	v_mov_b32_e32 v15, 0
	v_mov_b32_e32 v16, 0
.LBB0_193:                              ;   in Loop: Header=BB0_171 Depth=2
	s_mov_b64 s[0:1], s[34:35]
	s_mov_b32 s38, 0
	s_cbranch_execnz .LBB0_195
.LBB0_194:                              ;   in Loop: Header=BB0_171 Depth=2
	global_load_dwordx2 v[15:16], v2, s[34:35]
	s_add_i32 s38, s39, -8
.LBB0_195:                              ;   in Loop: Header=BB0_171 Depth=2
	s_add_u32 s34, s0, 8
	s_addc_u32 s35, s1, 0
	s_cmp_gt_u32 s38, 7
	s_cbranch_scc1 .LBB0_199
; %bb.196:                              ;   in Loop: Header=BB0_171 Depth=2
	s_cmp_eq_u32 s38, 0
	s_cbranch_scc1 .LBB0_200
; %bb.197:                              ;   in Loop: Header=BB0_171 Depth=2
	v_mov_b32_e32 v17, 0
	s_mov_b64 s[34:35], 0
	v_mov_b32_e32 v18, 0
	s_mov_b64 s[36:37], 0
.LBB0_198:                              ;   Parent Loop BB0_142 Depth=1
                                        ;     Parent Loop BB0_171 Depth=2
                                        ; =>    This Inner Loop Header: Depth=3
	s_add_u32 s40, s0, s36
	s_addc_u32 s41, s1, s37
	global_load_ubyte v1, v2, s[40:41]
	s_add_u32 s36, s36, 1
	s_addc_u32 s37, s37, 0
	s_waitcnt vmcnt(0)
	v_and_b32_e32 v1, 0xffff, v1
	v_lshlrev_b64 v[3:4], s34, v[1:2]
	s_add_u32 s34, s34, 8
	s_addc_u32 s35, s35, 0
	v_or_b32_e32 v17, v3, v17
	s_cmp_lg_u32 s38, s36
	v_or_b32_e32 v18, v4, v18
	s_cbranch_scc1 .LBB0_198
	s_branch .LBB0_201
.LBB0_199:                              ;   in Loop: Header=BB0_171 Depth=2
                                        ; implicit-def: $vgpr17_vgpr18
	s_mov_b32 s39, 0
	s_branch .LBB0_202
.LBB0_200:                              ;   in Loop: Header=BB0_171 Depth=2
	v_mov_b32_e32 v17, 0
	v_mov_b32_e32 v18, 0
.LBB0_201:                              ;   in Loop: Header=BB0_171 Depth=2
	s_mov_b64 s[34:35], s[0:1]
	s_mov_b32 s39, 0
	s_cbranch_execnz .LBB0_203
.LBB0_202:                              ;   in Loop: Header=BB0_171 Depth=2
	global_load_dwordx2 v[17:18], v2, s[0:1]
	s_add_i32 s39, s38, -8
.LBB0_203:                              ;   in Loop: Header=BB0_171 Depth=2
	s_add_u32 s0, s34, 8
	s_addc_u32 s1, s35, 0
	s_cmp_gt_u32 s39, 7
	s_cbranch_scc1 .LBB0_207
; %bb.204:                              ;   in Loop: Header=BB0_171 Depth=2
	s_cmp_eq_u32 s39, 0
	s_cbranch_scc1 .LBB0_208
; %bb.205:                              ;   in Loop: Header=BB0_171 Depth=2
	v_mov_b32_e32 v19, 0
	s_mov_b64 s[0:1], 0
	v_mov_b32_e32 v20, 0
	s_mov_b64 s[36:37], 0
.LBB0_206:                              ;   Parent Loop BB0_142 Depth=1
                                        ;     Parent Loop BB0_171 Depth=2
                                        ; =>    This Inner Loop Header: Depth=3
	s_add_u32 s40, s34, s36
	s_addc_u32 s41, s35, s37
	global_load_ubyte v1, v2, s[40:41]
	s_add_u32 s36, s36, 1
	s_addc_u32 s37, s37, 0
	s_waitcnt vmcnt(0)
	v_and_b32_e32 v1, 0xffff, v1
	v_lshlrev_b64 v[3:4], s0, v[1:2]
	s_add_u32 s0, s0, 8
	s_addc_u32 s1, s1, 0
	v_or_b32_e32 v19, v3, v19
	s_cmp_lg_u32 s39, s36
	v_or_b32_e32 v20, v4, v20
	s_cbranch_scc1 .LBB0_206
	s_branch .LBB0_209
.LBB0_207:                              ;   in Loop: Header=BB0_171 Depth=2
	s_mov_b32 s38, 0
	s_branch .LBB0_210
.LBB0_208:                              ;   in Loop: Header=BB0_171 Depth=2
	v_mov_b32_e32 v19, 0
	v_mov_b32_e32 v20, 0
.LBB0_209:                              ;   in Loop: Header=BB0_171 Depth=2
	s_mov_b64 s[0:1], s[34:35]
	s_mov_b32 s38, 0
	s_cbranch_execnz .LBB0_211
.LBB0_210:                              ;   in Loop: Header=BB0_171 Depth=2
	global_load_dwordx2 v[19:20], v2, s[34:35]
	s_add_i32 s38, s39, -8
.LBB0_211:                              ;   in Loop: Header=BB0_171 Depth=2
	s_add_u32 s34, s0, 8
	s_addc_u32 s35, s1, 0
	s_cmp_gt_u32 s38, 7
	s_cbranch_scc1 .LBB0_215
; %bb.212:                              ;   in Loop: Header=BB0_171 Depth=2
	s_cmp_eq_u32 s38, 0
	s_cbranch_scc1 .LBB0_216
; %bb.213:                              ;   in Loop: Header=BB0_171 Depth=2
	v_mov_b32_e32 v21, 0
	s_mov_b64 s[34:35], 0
	v_mov_b32_e32 v22, 0
	s_mov_b64 s[36:37], 0
.LBB0_214:                              ;   Parent Loop BB0_142 Depth=1
                                        ;     Parent Loop BB0_171 Depth=2
                                        ; =>    This Inner Loop Header: Depth=3
	s_add_u32 s40, s0, s36
	s_addc_u32 s41, s1, s37
	global_load_ubyte v1, v2, s[40:41]
	s_add_u32 s36, s36, 1
	s_addc_u32 s37, s37, 0
	s_waitcnt vmcnt(0)
	v_and_b32_e32 v1, 0xffff, v1
	v_lshlrev_b64 v[3:4], s34, v[1:2]
	s_add_u32 s34, s34, 8
	s_addc_u32 s35, s35, 0
	v_or_b32_e32 v21, v3, v21
	s_cmp_lg_u32 s38, s36
	v_or_b32_e32 v22, v4, v22
	s_cbranch_scc1 .LBB0_214
	s_branch .LBB0_217
.LBB0_215:                              ;   in Loop: Header=BB0_171 Depth=2
                                        ; implicit-def: $vgpr21_vgpr22
	s_mov_b32 s39, 0
	s_branch .LBB0_218
.LBB0_216:                              ;   in Loop: Header=BB0_171 Depth=2
	v_mov_b32_e32 v21, 0
	v_mov_b32_e32 v22, 0
.LBB0_217:                              ;   in Loop: Header=BB0_171 Depth=2
	s_mov_b64 s[34:35], s[0:1]
	s_mov_b32 s39, 0
	s_cbranch_execnz .LBB0_219
.LBB0_218:                              ;   in Loop: Header=BB0_171 Depth=2
	global_load_dwordx2 v[21:22], v2, s[0:1]
	s_add_i32 s39, s38, -8
.LBB0_219:                              ;   in Loop: Header=BB0_171 Depth=2
	s_cmp_gt_u32 s39, 7
	s_cbranch_scc1 .LBB0_223
; %bb.220:                              ;   in Loop: Header=BB0_171 Depth=2
	s_cmp_eq_u32 s39, 0
	s_cbranch_scc1 .LBB0_224
; %bb.221:                              ;   in Loop: Header=BB0_171 Depth=2
	v_mov_b32_e32 v23, 0
	s_mov_b64 s[0:1], 0
	v_mov_b32_e32 v24, 0
	s_mov_b64 s[36:37], s[34:35]
.LBB0_222:                              ;   Parent Loop BB0_142 Depth=1
                                        ;     Parent Loop BB0_171 Depth=2
                                        ; =>    This Inner Loop Header: Depth=3
	global_load_ubyte v1, v2, s[36:37]
	s_add_i32 s39, s39, -1
	s_waitcnt vmcnt(0)
	v_and_b32_e32 v1, 0xffff, v1
	v_lshlrev_b64 v[3:4], s0, v[1:2]
	s_add_u32 s0, s0, 8
	s_addc_u32 s1, s1, 0
	s_add_u32 s36, s36, 1
	s_addc_u32 s37, s37, 0
	v_or_b32_e32 v23, v3, v23
	s_cmp_lg_u32 s39, 0
	v_or_b32_e32 v24, v4, v24
	s_cbranch_scc1 .LBB0_222
	s_branch .LBB0_225
.LBB0_223:                              ;   in Loop: Header=BB0_171 Depth=2
	s_branch .LBB0_226
.LBB0_224:                              ;   in Loop: Header=BB0_171 Depth=2
	v_mov_b32_e32 v23, 0
	v_mov_b32_e32 v24, 0
.LBB0_225:                              ;   in Loop: Header=BB0_171 Depth=2
	s_cbranch_execnz .LBB0_227
.LBB0_226:                              ;   in Loop: Header=BB0_171 Depth=2
	global_load_dwordx2 v[23:24], v2, s[34:35]
.LBB0_227:                              ;   in Loop: Header=BB0_171 Depth=2
	v_readfirstlane_b32 s0, v31
	v_mov_b32_e32 v3, 0
	v_mov_b32_e32 v4, 0
	v_cmp_eq_u32_e64 s[0:1], s0, v31
	s_and_saveexec_b64 s[34:35], s[0:1]
	s_cbranch_execz .LBB0_233
; %bb.228:                              ;   in Loop: Header=BB0_171 Depth=2
	global_load_dwordx2 v[27:28], v2, s[2:3] offset:24 glc
	s_waitcnt vmcnt(0)
	buffer_wbinvl1_vol
	global_load_dwordx2 v[3:4], v2, s[2:3] offset:40
	global_load_dwordx2 v[25:26], v2, s[2:3]
	s_waitcnt vmcnt(1)
	v_and_b32_e32 v1, v3, v27
	v_and_b32_e32 v3, v4, v28
	v_mul_lo_u32 v3, v3, 24
	v_mul_hi_u32 v4, v1, 24
	v_mul_lo_u32 v1, v1, 24
	v_add_u32_e32 v4, v4, v3
	s_waitcnt vmcnt(0)
	v_add_co_u32_e32 v3, vcc, v25, v1
	v_addc_co_u32_e32 v4, vcc, v26, v4, vcc
	global_load_dwordx2 v[25:26], v[3:4], off glc
	s_waitcnt vmcnt(0)
	global_atomic_cmpswap_x2 v[3:4], v2, v[25:28], s[2:3] offset:24 glc
	s_waitcnt vmcnt(0)
	buffer_wbinvl1_vol
	v_cmp_ne_u64_e32 vcc, v[3:4], v[27:28]
	s_and_saveexec_b64 s[36:37], vcc
	s_cbranch_execz .LBB0_232
; %bb.229:                              ;   in Loop: Header=BB0_171 Depth=2
	s_mov_b64 s[38:39], 0
.LBB0_230:                              ;   Parent Loop BB0_142 Depth=1
                                        ;     Parent Loop BB0_171 Depth=2
                                        ; =>    This Inner Loop Header: Depth=3
	s_sleep 1
	global_load_dwordx2 v[25:26], v2, s[2:3] offset:40
	global_load_dwordx2 v[29:30], v2, s[2:3]
	v_mov_b32_e32 v28, v4
	v_mov_b32_e32 v27, v3
	s_waitcnt vmcnt(1)
	v_and_b32_e32 v1, v25, v27
	s_waitcnt vmcnt(0)
	v_mad_u64_u32 v[3:4], s[40:41], v1, 24, v[29:30]
	v_and_b32_e32 v25, v26, v28
	v_mov_b32_e32 v1, v4
	v_mad_u64_u32 v[25:26], s[40:41], v25, 24, v[1:2]
	v_mov_b32_e32 v4, v25
	global_load_dwordx2 v[25:26], v[3:4], off glc
	s_waitcnt vmcnt(0)
	global_atomic_cmpswap_x2 v[3:4], v2, v[25:28], s[2:3] offset:24 glc
	s_waitcnt vmcnt(0)
	buffer_wbinvl1_vol
	v_cmp_eq_u64_e32 vcc, v[3:4], v[27:28]
	s_or_b64 s[38:39], vcc, s[38:39]
	s_andn2_b64 exec, exec, s[38:39]
	s_cbranch_execnz .LBB0_230
; %bb.231:                              ;   in Loop: Header=BB0_171 Depth=2
	s_or_b64 exec, exec, s[38:39]
.LBB0_232:                              ;   in Loop: Header=BB0_171 Depth=2
	s_or_b64 exec, exec, s[36:37]
.LBB0_233:                              ;   in Loop: Header=BB0_171 Depth=2
	s_or_b64 exec, exec, s[34:35]
	global_load_dwordx2 v[29:30], v2, s[2:3] offset:40
	global_load_dwordx4 v[25:28], v2, s[2:3]
	v_readfirstlane_b32 s35, v4
	v_readfirstlane_b32 s34, v3
	s_mov_b64 s[36:37], exec
	s_waitcnt vmcnt(1)
	v_readfirstlane_b32 s38, v29
	v_readfirstlane_b32 s39, v30
	s_and_b64 s[38:39], s[38:39], s[34:35]
	s_mul_i32 s40, s39, 24
	s_mul_hi_u32 s41, s38, 24
	s_mul_i32 s42, s38, 24
	s_add_i32 s40, s41, s40
	v_mov_b32_e32 v1, s40
	s_waitcnt vmcnt(0)
	v_add_co_u32_e32 v29, vcc, s42, v25
	v_addc_co_u32_e32 v30, vcc, v26, v1, vcc
	s_and_saveexec_b64 s[40:41], s[0:1]
	s_cbranch_execz .LBB0_235
; %bb.234:                              ;   in Loop: Header=BB0_171 Depth=2
	v_mov_b32_e32 v3, s36
	v_mov_b32_e32 v4, s37
	global_store_dwordx4 v[29:30], v[3:6], off offset:8
.LBB0_235:                              ;   in Loop: Header=BB0_171 Depth=2
	s_or_b64 exec, exec, s[40:41]
	s_lshl_b64 s[36:37], s[38:39], 12
	v_mov_b32_e32 v1, s37
	v_add_co_u32_e32 v27, vcc, s36, v27
	v_addc_co_u32_e32 v28, vcc, v28, v1, vcc
	v_cmp_lt_u64_e64 vcc, s[28:29], 57
	v_and_b32_e32 v1, 2, v7
	s_lshl_b32 s36, s30, 2
	v_cndmask_b32_e32 v1, 0, v1, vcc
	s_add_i32 s36, s36, 28
	v_and_b32_e32 v3, 0xffffff1f, v9
	s_and_b32 s36, s36, 0x1e0
	v_or_b32_e32 v1, v3, v1
	v_or_b32_e32 v9, s36, v1
	v_readfirstlane_b32 s36, v27
	v_readfirstlane_b32 s37, v28
	s_nop 4
	global_store_dwordx4 v32, v[9:12], s[36:37]
	global_store_dwordx4 v32, v[13:16], s[36:37] offset:16
	global_store_dwordx4 v32, v[17:20], s[36:37] offset:32
	;; [unrolled: 1-line block ×3, first 2 shown]
	s_and_saveexec_b64 s[36:37], s[0:1]
	s_cbranch_execz .LBB0_243
; %bb.236:                              ;   in Loop: Header=BB0_171 Depth=2
	global_load_dwordx2 v[13:14], v2, s[2:3] offset:32 glc
	global_load_dwordx2 v[3:4], v2, s[2:3] offset:40
	v_mov_b32_e32 v11, s34
	v_mov_b32_e32 v12, s35
	s_waitcnt vmcnt(0)
	v_readfirstlane_b32 s38, v3
	v_readfirstlane_b32 s39, v4
	s_and_b64 s[38:39], s[38:39], s[34:35]
	s_mul_i32 s39, s39, 24
	s_mul_hi_u32 s40, s38, 24
	s_mul_i32 s38, s38, 24
	s_add_i32 s39, s40, s39
	v_mov_b32_e32 v1, s39
	v_add_co_u32_e32 v3, vcc, s38, v25
	v_addc_co_u32_e32 v4, vcc, v26, v1, vcc
	global_store_dwordx2 v[3:4], v[13:14], off
	s_waitcnt vmcnt(0)
	global_atomic_cmpswap_x2 v[11:12], v2, v[11:14], s[2:3] offset:32 glc
	s_waitcnt vmcnt(0)
	v_cmp_ne_u64_e32 vcc, v[11:12], v[13:14]
	s_and_saveexec_b64 s[38:39], vcc
	s_cbranch_execz .LBB0_239
; %bb.237:                              ;   in Loop: Header=BB0_171 Depth=2
	s_mov_b64 s[40:41], 0
.LBB0_238:                              ;   Parent Loop BB0_142 Depth=1
                                        ;     Parent Loop BB0_171 Depth=2
                                        ; =>    This Inner Loop Header: Depth=3
	s_sleep 1
	global_store_dwordx2 v[3:4], v[11:12], off
	v_mov_b32_e32 v9, s34
	v_mov_b32_e32 v10, s35
	s_waitcnt vmcnt(0)
	global_atomic_cmpswap_x2 v[9:10], v2, v[9:12], s[2:3] offset:32 glc
	s_waitcnt vmcnt(0)
	v_cmp_eq_u64_e32 vcc, v[9:10], v[11:12]
	v_mov_b32_e32 v12, v10
	s_or_b64 s[40:41], vcc, s[40:41]
	v_mov_b32_e32 v11, v9
	s_andn2_b64 exec, exec, s[40:41]
	s_cbranch_execnz .LBB0_238
.LBB0_239:                              ;   in Loop: Header=BB0_171 Depth=2
	s_or_b64 exec, exec, s[38:39]
	global_load_dwordx2 v[3:4], v2, s[2:3] offset:16
	s_mov_b64 s[40:41], exec
	v_mbcnt_lo_u32_b32 v1, s40, 0
	v_mbcnt_hi_u32_b32 v1, s41, v1
	v_cmp_eq_u32_e32 vcc, 0, v1
	s_and_saveexec_b64 s[38:39], vcc
	s_cbranch_execz .LBB0_241
; %bb.240:                              ;   in Loop: Header=BB0_171 Depth=2
	s_bcnt1_i32_b64 s40, s[40:41]
	v_mov_b32_e32 v1, s40
	s_waitcnt vmcnt(0)
	global_atomic_add_x2 v[3:4], v[1:2], off offset:8
.LBB0_241:                              ;   in Loop: Header=BB0_171 Depth=2
	s_or_b64 exec, exec, s[38:39]
	s_waitcnt vmcnt(0)
	global_load_dwordx2 v[9:10], v[3:4], off offset:16
	s_waitcnt vmcnt(0)
	v_cmp_eq_u64_e32 vcc, 0, v[9:10]
	s_cbranch_vccnz .LBB0_243
; %bb.242:                              ;   in Loop: Header=BB0_171 Depth=2
	global_load_dword v1, v[3:4], off offset:24
	s_waitcnt vmcnt(0)
	v_readfirstlane_b32 s38, v1
	s_and_b32 m0, s38, 0xffffff
	global_store_dwordx2 v[9:10], v[1:2], off
	s_sendmsg sendmsg(MSG_INTERRUPT)
.LBB0_243:                              ;   in Loop: Header=BB0_171 Depth=2
	s_or_b64 exec, exec, s[36:37]
	v_add_co_u32_e32 v3, vcc, v27, v32
	v_addc_co_u32_e32 v4, vcc, 0, v28, vcc
	s_branch .LBB0_247
.LBB0_244:                              ;   in Loop: Header=BB0_247 Depth=3
	s_or_b64 exec, exec, s[36:37]
	v_readfirstlane_b32 s36, v1
	s_cmp_eq_u32 s36, 0
	s_cbranch_scc1 .LBB0_246
; %bb.245:                              ;   in Loop: Header=BB0_247 Depth=3
	s_sleep 1
	s_cbranch_execnz .LBB0_247
	s_branch .LBB0_249
.LBB0_246:                              ;   in Loop: Header=BB0_171 Depth=2
	s_branch .LBB0_249
.LBB0_247:                              ;   Parent Loop BB0_142 Depth=1
                                        ;     Parent Loop BB0_171 Depth=2
                                        ; =>    This Inner Loop Header: Depth=3
	v_mov_b32_e32 v1, 1
	s_and_saveexec_b64 s[36:37], s[0:1]
	s_cbranch_execz .LBB0_244
; %bb.248:                              ;   in Loop: Header=BB0_247 Depth=3
	global_load_dword v1, v[29:30], off offset:20 glc
	s_waitcnt vmcnt(0)
	buffer_wbinvl1_vol
	v_and_b32_e32 v1, 1, v1
	s_branch .LBB0_244
.LBB0_249:                              ;   in Loop: Header=BB0_171 Depth=2
	global_load_dwordx2 v[9:10], v[3:4], off
	s_and_saveexec_b64 s[36:37], s[0:1]
	s_cbranch_execz .LBB0_170
; %bb.250:                              ;   in Loop: Header=BB0_171 Depth=2
	global_load_dwordx2 v[3:4], v2, s[2:3] offset:40
	global_load_dwordx2 v[15:16], v2, s[2:3] offset:24 glc
	global_load_dwordx2 v[11:12], v2, s[2:3]
	s_waitcnt vmcnt(2)
	v_readfirstlane_b32 s38, v3
	v_readfirstlane_b32 s39, v4
	s_add_u32 s40, s38, 1
	s_addc_u32 s41, s39, 0
	s_add_u32 s0, s40, s34
	s_addc_u32 s1, s41, s35
	s_cmp_eq_u64 s[0:1], 0
	s_cselect_b32 s1, s41, s1
	s_cselect_b32 s0, s40, s0
	s_and_b64 s[34:35], s[0:1], s[38:39]
	s_mul_i32 s35, s35, 24
	s_mul_hi_u32 s38, s34, 24
	s_mul_i32 s34, s34, 24
	s_add_i32 s35, s38, s35
	v_mov_b32_e32 v1, s35
	s_waitcnt vmcnt(0)
	v_add_co_u32_e32 v3, vcc, s34, v11
	v_addc_co_u32_e32 v4, vcc, v12, v1, vcc
	v_mov_b32_e32 v13, s0
	global_store_dwordx2 v[3:4], v[15:16], off
	v_mov_b32_e32 v14, s1
	s_waitcnt vmcnt(0)
	global_atomic_cmpswap_x2 v[13:14], v2, v[13:16], s[2:3] offset:24 glc
	s_waitcnt vmcnt(0)
	v_cmp_ne_u64_e32 vcc, v[13:14], v[15:16]
	s_and_b64 exec, exec, vcc
	s_cbranch_execz .LBB0_170
; %bb.251:                              ;   in Loop: Header=BB0_171 Depth=2
	s_mov_b64 s[34:35], 0
.LBB0_252:                              ;   Parent Loop BB0_142 Depth=1
                                        ;     Parent Loop BB0_171 Depth=2
                                        ; =>    This Inner Loop Header: Depth=3
	s_sleep 1
	global_store_dwordx2 v[3:4], v[13:14], off
	v_mov_b32_e32 v11, s0
	v_mov_b32_e32 v12, s1
	s_waitcnt vmcnt(0)
	global_atomic_cmpswap_x2 v[11:12], v2, v[11:14], s[2:3] offset:24 glc
	s_waitcnt vmcnt(0)
	v_cmp_eq_u64_e32 vcc, v[11:12], v[13:14]
	v_mov_b32_e32 v14, v12
	s_or_b64 s[34:35], vcc, s[34:35]
	v_mov_b32_e32 v13, v11
	s_andn2_b64 exec, exec, s[34:35]
	s_cbranch_execnz .LBB0_252
	s_branch .LBB0_170
.LBB0_253:                              ;   in Loop: Header=BB0_142 Depth=1
	s_branch .LBB0_282
.LBB0_254:                              ;   in Loop: Header=BB0_142 Depth=1
                                        ; implicit-def: $vgpr9_vgpr10
	s_cbranch_execz .LBB0_282
; %bb.255:                              ;   in Loop: Header=BB0_142 Depth=1
	v_readfirstlane_b32 s0, v31
	v_mov_b32_e32 v3, 0
	v_mov_b32_e32 v4, 0
	v_cmp_eq_u32_e64 s[0:1], s0, v31
	s_and_saveexec_b64 s[26:27], s[0:1]
	s_cbranch_execz .LBB0_261
; %bb.256:                              ;   in Loop: Header=BB0_142 Depth=1
	global_load_dwordx2 v[11:12], v2, s[2:3] offset:24 glc
	s_waitcnt vmcnt(0)
	buffer_wbinvl1_vol
	global_load_dwordx2 v[3:4], v2, s[2:3] offset:40
	global_load_dwordx2 v[9:10], v2, s[2:3]
	s_waitcnt vmcnt(1)
	v_and_b32_e32 v1, v3, v11
	v_and_b32_e32 v3, v4, v12
	v_mul_lo_u32 v3, v3, 24
	v_mul_hi_u32 v4, v1, 24
	v_mul_lo_u32 v1, v1, 24
	v_add_u32_e32 v4, v4, v3
	s_waitcnt vmcnt(0)
	v_add_co_u32_e32 v3, vcc, v9, v1
	v_addc_co_u32_e32 v4, vcc, v10, v4, vcc
	global_load_dwordx2 v[9:10], v[3:4], off glc
	s_waitcnt vmcnt(0)
	global_atomic_cmpswap_x2 v[3:4], v2, v[9:12], s[2:3] offset:24 glc
	s_waitcnt vmcnt(0)
	buffer_wbinvl1_vol
	v_cmp_ne_u64_e32 vcc, v[3:4], v[11:12]
	s_and_saveexec_b64 s[28:29], vcc
	s_cbranch_execz .LBB0_260
; %bb.257:                              ;   in Loop: Header=BB0_142 Depth=1
	s_mov_b64 s[30:31], 0
.LBB0_258:                              ;   Parent Loop BB0_142 Depth=1
                                        ; =>  This Inner Loop Header: Depth=2
	s_sleep 1
	global_load_dwordx2 v[9:10], v2, s[2:3] offset:40
	global_load_dwordx2 v[13:14], v2, s[2:3]
	v_mov_b32_e32 v12, v4
	v_mov_b32_e32 v11, v3
	s_waitcnt vmcnt(1)
	v_and_b32_e32 v1, v9, v11
	s_waitcnt vmcnt(0)
	v_mad_u64_u32 v[3:4], s[34:35], v1, 24, v[13:14]
	v_and_b32_e32 v9, v10, v12
	v_mov_b32_e32 v1, v4
	v_mad_u64_u32 v[9:10], s[34:35], v9, 24, v[1:2]
	v_mov_b32_e32 v4, v9
	global_load_dwordx2 v[9:10], v[3:4], off glc
	s_waitcnt vmcnt(0)
	global_atomic_cmpswap_x2 v[3:4], v2, v[9:12], s[2:3] offset:24 glc
	s_waitcnt vmcnt(0)
	buffer_wbinvl1_vol
	v_cmp_eq_u64_e32 vcc, v[3:4], v[11:12]
	s_or_b64 s[30:31], vcc, s[30:31]
	s_andn2_b64 exec, exec, s[30:31]
	s_cbranch_execnz .LBB0_258
; %bb.259:                              ;   in Loop: Header=BB0_142 Depth=1
	s_or_b64 exec, exec, s[30:31]
.LBB0_260:                              ;   in Loop: Header=BB0_142 Depth=1
	s_or_b64 exec, exec, s[28:29]
.LBB0_261:                              ;   in Loop: Header=BB0_142 Depth=1
	s_or_b64 exec, exec, s[26:27]
	global_load_dwordx2 v[9:10], v2, s[2:3] offset:40
	global_load_dwordx4 v[11:14], v2, s[2:3]
	v_readfirstlane_b32 s27, v4
	v_readfirstlane_b32 s26, v3
	s_mov_b64 s[28:29], exec
	s_waitcnt vmcnt(1)
	v_readfirstlane_b32 s30, v9
	v_readfirstlane_b32 s31, v10
	s_and_b64 s[30:31], s[30:31], s[26:27]
	s_mul_i32 s34, s31, 24
	s_mul_hi_u32 s35, s30, 24
	s_mul_i32 s36, s30, 24
	s_add_i32 s34, s35, s34
	v_mov_b32_e32 v1, s34
	s_waitcnt vmcnt(0)
	v_add_co_u32_e32 v15, vcc, s36, v11
	v_addc_co_u32_e32 v16, vcc, v12, v1, vcc
	s_and_saveexec_b64 s[34:35], s[0:1]
	s_cbranch_execz .LBB0_263
; %bb.262:                              ;   in Loop: Header=BB0_142 Depth=1
	v_mov_b32_e32 v3, s28
	v_mov_b32_e32 v4, s29
	global_store_dwordx4 v[15:16], v[3:6], off offset:8
.LBB0_263:                              ;   in Loop: Header=BB0_142 Depth=1
	s_or_b64 exec, exec, s[34:35]
	s_lshl_b64 s[28:29], s[30:31], 12
	v_mov_b32_e32 v1, s29
	v_add_co_u32_e32 v13, vcc, s28, v13
	v_addc_co_u32_e32 v14, vcc, v14, v1, vcc
	v_and_or_b32 v7, v7, s8, 32
	v_mov_b32_e32 v9, v2
	v_mov_b32_e32 v10, v2
	v_readfirstlane_b32 s28, v13
	v_readfirstlane_b32 s29, v14
	s_nop 4
	global_store_dwordx4 v32, v[7:10], s[28:29]
	s_nop 0
	v_mov_b32_e32 v10, s7
	v_mov_b32_e32 v9, s6
	;; [unrolled: 1-line block ×4, first 2 shown]
	global_store_dwordx4 v32, v[7:10], s[28:29] offset:16
	global_store_dwordx4 v32, v[7:10], s[28:29] offset:32
	;; [unrolled: 1-line block ×3, first 2 shown]
	s_and_saveexec_b64 s[28:29], s[0:1]
	s_cbranch_execz .LBB0_271
; %bb.264:                              ;   in Loop: Header=BB0_142 Depth=1
	global_load_dwordx2 v[19:20], v2, s[2:3] offset:32 glc
	global_load_dwordx2 v[3:4], v2, s[2:3] offset:40
	v_mov_b32_e32 v17, s26
	v_mov_b32_e32 v18, s27
	s_waitcnt vmcnt(0)
	v_readfirstlane_b32 s30, v3
	v_readfirstlane_b32 s31, v4
	s_and_b64 s[30:31], s[30:31], s[26:27]
	s_mul_i32 s31, s31, 24
	s_mul_hi_u32 s34, s30, 24
	s_mul_i32 s30, s30, 24
	s_add_i32 s31, s34, s31
	v_mov_b32_e32 v1, s31
	v_add_co_u32_e32 v3, vcc, s30, v11
	v_addc_co_u32_e32 v4, vcc, v12, v1, vcc
	global_store_dwordx2 v[3:4], v[19:20], off
	s_waitcnt vmcnt(0)
	global_atomic_cmpswap_x2 v[9:10], v2, v[17:20], s[2:3] offset:32 glc
	s_waitcnt vmcnt(0)
	v_cmp_ne_u64_e32 vcc, v[9:10], v[19:20]
	s_and_saveexec_b64 s[30:31], vcc
	s_cbranch_execz .LBB0_267
; %bb.265:                              ;   in Loop: Header=BB0_142 Depth=1
	s_mov_b64 s[34:35], 0
.LBB0_266:                              ;   Parent Loop BB0_142 Depth=1
                                        ; =>  This Inner Loop Header: Depth=2
	s_sleep 1
	global_store_dwordx2 v[3:4], v[9:10], off
	v_mov_b32_e32 v7, s26
	v_mov_b32_e32 v8, s27
	s_waitcnt vmcnt(0)
	global_atomic_cmpswap_x2 v[7:8], v2, v[7:10], s[2:3] offset:32 glc
	s_waitcnt vmcnt(0)
	v_cmp_eq_u64_e32 vcc, v[7:8], v[9:10]
	v_mov_b32_e32 v10, v8
	s_or_b64 s[34:35], vcc, s[34:35]
	v_mov_b32_e32 v9, v7
	s_andn2_b64 exec, exec, s[34:35]
	s_cbranch_execnz .LBB0_266
.LBB0_267:                              ;   in Loop: Header=BB0_142 Depth=1
	s_or_b64 exec, exec, s[30:31]
	global_load_dwordx2 v[3:4], v2, s[2:3] offset:16
	s_mov_b64 s[34:35], exec
	v_mbcnt_lo_u32_b32 v1, s34, 0
	v_mbcnt_hi_u32_b32 v1, s35, v1
	v_cmp_eq_u32_e32 vcc, 0, v1
	s_and_saveexec_b64 s[30:31], vcc
	s_cbranch_execz .LBB0_269
; %bb.268:                              ;   in Loop: Header=BB0_142 Depth=1
	s_bcnt1_i32_b64 s34, s[34:35]
	v_mov_b32_e32 v1, s34
	s_waitcnt vmcnt(0)
	global_atomic_add_x2 v[3:4], v[1:2], off offset:8
.LBB0_269:                              ;   in Loop: Header=BB0_142 Depth=1
	s_or_b64 exec, exec, s[30:31]
	s_waitcnt vmcnt(0)
	global_load_dwordx2 v[7:8], v[3:4], off offset:16
	s_waitcnt vmcnt(0)
	v_cmp_eq_u64_e32 vcc, 0, v[7:8]
	s_cbranch_vccnz .LBB0_271
; %bb.270:                              ;   in Loop: Header=BB0_142 Depth=1
	global_load_dword v1, v[3:4], off offset:24
	s_waitcnt vmcnt(0)
	v_readfirstlane_b32 s30, v1
	s_and_b32 m0, s30, 0xffffff
	global_store_dwordx2 v[7:8], v[1:2], off
	s_sendmsg sendmsg(MSG_INTERRUPT)
.LBB0_271:                              ;   in Loop: Header=BB0_142 Depth=1
	s_or_b64 exec, exec, s[28:29]
	v_add_co_u32_e32 v3, vcc, v13, v32
	v_addc_co_u32_e32 v4, vcc, 0, v14, vcc
	s_branch .LBB0_275
.LBB0_272:                              ;   in Loop: Header=BB0_275 Depth=2
	s_or_b64 exec, exec, s[28:29]
	v_readfirstlane_b32 s28, v1
	s_cmp_eq_u32 s28, 0
	s_cbranch_scc1 .LBB0_274
; %bb.273:                              ;   in Loop: Header=BB0_275 Depth=2
	s_sleep 1
	s_cbranch_execnz .LBB0_275
	s_branch .LBB0_277
.LBB0_274:                              ;   in Loop: Header=BB0_142 Depth=1
	s_branch .LBB0_277
.LBB0_275:                              ;   Parent Loop BB0_142 Depth=1
                                        ; =>  This Inner Loop Header: Depth=2
	v_mov_b32_e32 v1, 1
	s_and_saveexec_b64 s[28:29], s[0:1]
	s_cbranch_execz .LBB0_272
; %bb.276:                              ;   in Loop: Header=BB0_275 Depth=2
	global_load_dword v1, v[15:16], off offset:20 glc
	s_waitcnt vmcnt(0)
	buffer_wbinvl1_vol
	v_and_b32_e32 v1, 1, v1
	s_branch .LBB0_272
.LBB0_277:                              ;   in Loop: Header=BB0_142 Depth=1
	global_load_dwordx2 v[9:10], v[3:4], off
	s_and_saveexec_b64 s[28:29], s[0:1]
	s_cbranch_execz .LBB0_281
; %bb.278:                              ;   in Loop: Header=BB0_142 Depth=1
	global_load_dwordx2 v[3:4], v2, s[2:3] offset:40
	global_load_dwordx2 v[15:16], v2, s[2:3] offset:24 glc
	global_load_dwordx2 v[7:8], v2, s[2:3]
	s_waitcnt vmcnt(2)
	v_readfirstlane_b32 s30, v3
	v_readfirstlane_b32 s31, v4
	s_add_u32 s34, s30, 1
	s_addc_u32 s35, s31, 0
	s_add_u32 s0, s34, s26
	s_addc_u32 s1, s35, s27
	s_cmp_eq_u64 s[0:1], 0
	s_cselect_b32 s1, s35, s1
	s_cselect_b32 s0, s34, s0
	s_and_b64 s[26:27], s[0:1], s[30:31]
	s_mul_i32 s27, s27, 24
	s_mul_hi_u32 s30, s26, 24
	s_mul_i32 s26, s26, 24
	s_add_i32 s27, s30, s27
	v_mov_b32_e32 v1, s27
	s_waitcnt vmcnt(0)
	v_add_co_u32_e32 v3, vcc, s26, v7
	v_addc_co_u32_e32 v4, vcc, v8, v1, vcc
	v_mov_b32_e32 v13, s0
	global_store_dwordx2 v[3:4], v[15:16], off
	v_mov_b32_e32 v14, s1
	s_waitcnt vmcnt(0)
	global_atomic_cmpswap_x2 v[13:14], v2, v[13:16], s[2:3] offset:24 glc
	s_waitcnt vmcnt(0)
	v_cmp_ne_u64_e32 vcc, v[13:14], v[15:16]
	s_and_b64 exec, exec, vcc
	s_cbranch_execz .LBB0_281
; %bb.279:                              ;   in Loop: Header=BB0_142 Depth=1
	s_mov_b64 s[26:27], 0
.LBB0_280:                              ;   Parent Loop BB0_142 Depth=1
                                        ; =>  This Inner Loop Header: Depth=2
	s_sleep 1
	global_store_dwordx2 v[3:4], v[13:14], off
	v_mov_b32_e32 v11, s0
	v_mov_b32_e32 v12, s1
	s_waitcnt vmcnt(0)
	global_atomic_cmpswap_x2 v[7:8], v2, v[11:14], s[2:3] offset:24 glc
	s_waitcnt vmcnt(0)
	v_cmp_eq_u64_e32 vcc, v[7:8], v[13:14]
	v_mov_b32_e32 v14, v8
	s_or_b64 s[26:27], vcc, s[26:27]
	v_mov_b32_e32 v13, v7
	s_andn2_b64 exec, exec, s[26:27]
	s_cbranch_execnz .LBB0_280
.LBB0_281:                              ;   in Loop: Header=BB0_142 Depth=1
	s_or_b64 exec, exec, s[28:29]
.LBB0_282:                              ;   in Loop: Header=BB0_142 Depth=1
	v_readfirstlane_b32 s0, v31
	v_mov_b32_e32 v3, 0
	v_mov_b32_e32 v4, 0
	v_cmp_eq_u32_e64 s[0:1], s0, v31
	s_and_saveexec_b64 s[26:27], s[0:1]
	s_cbranch_execz .LBB0_288
; %bb.283:                              ;   in Loop: Header=BB0_142 Depth=1
	global_load_dwordx2 v[13:14], v2, s[2:3] offset:24 glc
	s_waitcnt vmcnt(0)
	buffer_wbinvl1_vol
	global_load_dwordx2 v[3:4], v2, s[2:3] offset:40
	global_load_dwordx2 v[7:8], v2, s[2:3]
	s_waitcnt vmcnt(1)
	v_and_b32_e32 v1, v3, v13
	v_and_b32_e32 v3, v4, v14
	v_mul_lo_u32 v3, v3, 24
	v_mul_hi_u32 v4, v1, 24
	v_mul_lo_u32 v1, v1, 24
	v_add_u32_e32 v4, v4, v3
	s_waitcnt vmcnt(0)
	v_add_co_u32_e32 v3, vcc, v7, v1
	v_addc_co_u32_e32 v4, vcc, v8, v4, vcc
	global_load_dwordx2 v[11:12], v[3:4], off glc
	s_waitcnt vmcnt(0)
	global_atomic_cmpswap_x2 v[3:4], v2, v[11:14], s[2:3] offset:24 glc
	s_waitcnt vmcnt(0)
	buffer_wbinvl1_vol
	v_cmp_ne_u64_e32 vcc, v[3:4], v[13:14]
	s_and_saveexec_b64 s[28:29], vcc
	s_cbranch_execz .LBB0_287
; %bb.284:                              ;   in Loop: Header=BB0_142 Depth=1
	s_mov_b64 s[30:31], 0
.LBB0_285:                              ;   Parent Loop BB0_142 Depth=1
                                        ; =>  This Inner Loop Header: Depth=2
	s_sleep 1
	global_load_dwordx2 v[7:8], v2, s[2:3] offset:40
	global_load_dwordx2 v[11:12], v2, s[2:3]
	v_mov_b32_e32 v14, v4
	v_mov_b32_e32 v13, v3
	s_waitcnt vmcnt(1)
	v_and_b32_e32 v1, v7, v13
	s_waitcnt vmcnt(0)
	v_mad_u64_u32 v[3:4], s[34:35], v1, 24, v[11:12]
	v_and_b32_e32 v7, v8, v14
	v_mov_b32_e32 v1, v4
	v_mad_u64_u32 v[7:8], s[34:35], v7, 24, v[1:2]
	v_mov_b32_e32 v4, v7
	global_load_dwordx2 v[11:12], v[3:4], off glc
	s_waitcnt vmcnt(0)
	global_atomic_cmpswap_x2 v[3:4], v2, v[11:14], s[2:3] offset:24 glc
	s_waitcnt vmcnt(0)
	buffer_wbinvl1_vol
	v_cmp_eq_u64_e32 vcc, v[3:4], v[13:14]
	s_or_b64 s[30:31], vcc, s[30:31]
	s_andn2_b64 exec, exec, s[30:31]
	s_cbranch_execnz .LBB0_285
; %bb.286:                              ;   in Loop: Header=BB0_142 Depth=1
	s_or_b64 exec, exec, s[30:31]
.LBB0_287:                              ;   in Loop: Header=BB0_142 Depth=1
	s_or_b64 exec, exec, s[28:29]
.LBB0_288:                              ;   in Loop: Header=BB0_142 Depth=1
	s_or_b64 exec, exec, s[26:27]
	global_load_dwordx2 v[7:8], v2, s[2:3] offset:40
	global_load_dwordx4 v[13:16], v2, s[2:3]
	v_readfirstlane_b32 s27, v4
	v_readfirstlane_b32 s26, v3
	s_mov_b64 s[28:29], exec
	s_waitcnt vmcnt(1)
	v_readfirstlane_b32 s30, v7
	v_readfirstlane_b32 s31, v8
	s_and_b64 s[30:31], s[30:31], s[26:27]
	s_mul_i32 s34, s31, 24
	s_mul_hi_u32 s35, s30, 24
	s_mul_i32 s36, s30, 24
	s_add_i32 s34, s35, s34
	v_mov_b32_e32 v1, s34
	s_waitcnt vmcnt(0)
	v_add_co_u32_e32 v17, vcc, s36, v13
	v_addc_co_u32_e32 v18, vcc, v14, v1, vcc
	s_and_saveexec_b64 s[34:35], s[0:1]
	s_cbranch_execz .LBB0_290
; %bb.289:                              ;   in Loop: Header=BB0_142 Depth=1
	v_mov_b32_e32 v3, s28
	v_mov_b32_e32 v4, s29
	global_store_dwordx4 v[17:18], v[3:6], off offset:8
.LBB0_290:                              ;   in Loop: Header=BB0_142 Depth=1
	s_or_b64 exec, exec, s[34:35]
	s_lshl_b64 s[28:29], s[30:31], 12
	v_mov_b32_e32 v1, s29
	v_add_co_u32_e32 v3, vcc, s28, v15
	v_addc_co_u32_e32 v1, vcc, v16, v1, vcc
	v_and_or_b32 v9, v9, s11, 34
	v_mov_b32_e32 v11, s18
	v_mov_b32_e32 v12, v2
	v_readfirstlane_b32 s28, v3
	v_readfirstlane_b32 s29, v1
	s_nop 4
	global_store_dwordx4 v32, v[9:12], s[28:29]
	s_nop 0
	v_mov_b32_e32 v10, s7
	v_mov_b32_e32 v9, s6
	;; [unrolled: 1-line block ×4, first 2 shown]
	global_store_dwordx4 v32, v[7:10], s[28:29] offset:16
	global_store_dwordx4 v32, v[7:10], s[28:29] offset:32
	;; [unrolled: 1-line block ×3, first 2 shown]
	s_and_saveexec_b64 s[28:29], s[0:1]
	s_cbranch_execz .LBB0_298
; %bb.291:                              ;   in Loop: Header=BB0_142 Depth=1
	global_load_dwordx2 v[11:12], v2, s[2:3] offset:32 glc
	global_load_dwordx2 v[3:4], v2, s[2:3] offset:40
	v_mov_b32_e32 v9, s26
	v_mov_b32_e32 v10, s27
	s_waitcnt vmcnt(0)
	v_readfirstlane_b32 s30, v3
	v_readfirstlane_b32 s31, v4
	s_and_b64 s[30:31], s[30:31], s[26:27]
	s_mul_i32 s31, s31, 24
	s_mul_hi_u32 s34, s30, 24
	s_mul_i32 s30, s30, 24
	s_add_i32 s31, s34, s31
	v_mov_b32_e32 v1, s31
	v_add_co_u32_e32 v3, vcc, s30, v13
	v_addc_co_u32_e32 v4, vcc, v14, v1, vcc
	global_store_dwordx2 v[3:4], v[11:12], off
	s_waitcnt vmcnt(0)
	global_atomic_cmpswap_x2 v[9:10], v2, v[9:12], s[2:3] offset:32 glc
	s_waitcnt vmcnt(0)
	v_cmp_ne_u64_e32 vcc, v[9:10], v[11:12]
	s_and_saveexec_b64 s[30:31], vcc
	s_cbranch_execz .LBB0_294
; %bb.292:                              ;   in Loop: Header=BB0_142 Depth=1
	s_mov_b64 s[34:35], 0
.LBB0_293:                              ;   Parent Loop BB0_142 Depth=1
                                        ; =>  This Inner Loop Header: Depth=2
	s_sleep 1
	global_store_dwordx2 v[3:4], v[9:10], off
	v_mov_b32_e32 v7, s26
	v_mov_b32_e32 v8, s27
	s_waitcnt vmcnt(0)
	global_atomic_cmpswap_x2 v[7:8], v2, v[7:10], s[2:3] offset:32 glc
	s_waitcnt vmcnt(0)
	v_cmp_eq_u64_e32 vcc, v[7:8], v[9:10]
	v_mov_b32_e32 v10, v8
	s_or_b64 s[34:35], vcc, s[34:35]
	v_mov_b32_e32 v9, v7
	s_andn2_b64 exec, exec, s[34:35]
	s_cbranch_execnz .LBB0_293
.LBB0_294:                              ;   in Loop: Header=BB0_142 Depth=1
	s_or_b64 exec, exec, s[30:31]
	global_load_dwordx2 v[3:4], v2, s[2:3] offset:16
	s_mov_b64 s[34:35], exec
	v_mbcnt_lo_u32_b32 v1, s34, 0
	v_mbcnt_hi_u32_b32 v1, s35, v1
	v_cmp_eq_u32_e32 vcc, 0, v1
	s_and_saveexec_b64 s[30:31], vcc
	s_cbranch_execz .LBB0_296
; %bb.295:                              ;   in Loop: Header=BB0_142 Depth=1
	s_bcnt1_i32_b64 s34, s[34:35]
	v_mov_b32_e32 v1, s34
	s_waitcnt vmcnt(0)
	global_atomic_add_x2 v[3:4], v[1:2], off offset:8
.LBB0_296:                              ;   in Loop: Header=BB0_142 Depth=1
	s_or_b64 exec, exec, s[30:31]
	s_waitcnt vmcnt(0)
	global_load_dwordx2 v[7:8], v[3:4], off offset:16
	s_waitcnt vmcnt(0)
	v_cmp_eq_u64_e32 vcc, 0, v[7:8]
	s_cbranch_vccnz .LBB0_298
; %bb.297:                              ;   in Loop: Header=BB0_142 Depth=1
	global_load_dword v1, v[3:4], off offset:24
	s_waitcnt vmcnt(0)
	v_readfirstlane_b32 s30, v1
	s_and_b32 m0, s30, 0xffffff
	global_store_dwordx2 v[7:8], v[1:2], off
	s_sendmsg sendmsg(MSG_INTERRUPT)
.LBB0_298:                              ;   in Loop: Header=BB0_142 Depth=1
	s_or_b64 exec, exec, s[28:29]
	s_branch .LBB0_302
.LBB0_299:                              ;   in Loop: Header=BB0_302 Depth=2
	s_or_b64 exec, exec, s[28:29]
	v_readfirstlane_b32 s28, v1
	s_cmp_eq_u32 s28, 0
	s_cbranch_scc1 .LBB0_301
; %bb.300:                              ;   in Loop: Header=BB0_302 Depth=2
	s_sleep 1
	s_cbranch_execnz .LBB0_302
	s_branch .LBB0_304
.LBB0_301:                              ;   in Loop: Header=BB0_142 Depth=1
	s_branch .LBB0_304
.LBB0_302:                              ;   Parent Loop BB0_142 Depth=1
                                        ; =>  This Inner Loop Header: Depth=2
	v_mov_b32_e32 v1, 1
	s_and_saveexec_b64 s[28:29], s[0:1]
	s_cbranch_execz .LBB0_299
; %bb.303:                              ;   in Loop: Header=BB0_302 Depth=2
	global_load_dword v1, v[17:18], off offset:20 glc
	s_waitcnt vmcnt(0)
	buffer_wbinvl1_vol
	v_and_b32_e32 v1, 1, v1
	s_branch .LBB0_299
.LBB0_304:                              ;   in Loop: Header=BB0_142 Depth=1
	s_and_saveexec_b64 s[28:29], s[0:1]
	s_cbranch_execz .LBB0_308
; %bb.305:                              ;   in Loop: Header=BB0_142 Depth=1
	global_load_dwordx2 v[3:4], v2, s[2:3] offset:40
	global_load_dwordx2 v[11:12], v2, s[2:3] offset:24 glc
	global_load_dwordx2 v[7:8], v2, s[2:3]
	s_waitcnt vmcnt(2)
	v_readfirstlane_b32 s30, v3
	v_readfirstlane_b32 s31, v4
	s_add_u32 s34, s30, 1
	s_addc_u32 s35, s31, 0
	s_add_u32 s0, s34, s26
	s_addc_u32 s1, s35, s27
	s_cmp_eq_u64 s[0:1], 0
	s_cselect_b32 s1, s35, s1
	s_cselect_b32 s0, s34, s0
	s_and_b64 s[26:27], s[0:1], s[30:31]
	s_mul_i32 s27, s27, 24
	s_mul_hi_u32 s30, s26, 24
	s_mul_i32 s26, s26, 24
	s_add_i32 s27, s30, s27
	v_mov_b32_e32 v1, s27
	s_waitcnt vmcnt(0)
	v_add_co_u32_e32 v3, vcc, s26, v7
	v_addc_co_u32_e32 v4, vcc, v8, v1, vcc
	v_mov_b32_e32 v9, s0
	global_store_dwordx2 v[3:4], v[11:12], off
	v_mov_b32_e32 v10, s1
	s_waitcnt vmcnt(0)
	global_atomic_cmpswap_x2 v[9:10], v2, v[9:12], s[2:3] offset:24 glc
	s_waitcnt vmcnt(0)
	v_cmp_ne_u64_e32 vcc, v[9:10], v[11:12]
	s_and_b64 exec, exec, vcc
	s_cbranch_execz .LBB0_308
; %bb.306:                              ;   in Loop: Header=BB0_142 Depth=1
	s_mov_b64 s[26:27], 0
.LBB0_307:                              ;   Parent Loop BB0_142 Depth=1
                                        ; =>  This Inner Loop Header: Depth=2
	s_sleep 1
	global_store_dwordx2 v[3:4], v[9:10], off
	v_mov_b32_e32 v7, s0
	v_mov_b32_e32 v8, s1
	s_waitcnt vmcnt(0)
	global_atomic_cmpswap_x2 v[7:8], v2, v[7:10], s[2:3] offset:24 glc
	s_waitcnt vmcnt(0)
	v_cmp_eq_u64_e32 vcc, v[7:8], v[9:10]
	v_mov_b32_e32 v10, v8
	s_or_b64 s[26:27], vcc, s[26:27]
	v_mov_b32_e32 v9, v7
	s_andn2_b64 exec, exec, s[26:27]
	s_cbranch_execnz .LBB0_307
.LBB0_308:                              ;   in Loop: Header=BB0_142 Depth=1
	s_or_b64 exec, exec, s[28:29]
	v_readfirstlane_b32 s0, v31
	v_mov_b32_e32 v3, 0
	v_mov_b32_e32 v4, 0
	v_cmp_eq_u32_e64 s[0:1], s0, v31
	s_and_saveexec_b64 s[26:27], s[0:1]
	s_cbranch_execz .LBB0_314
; %bb.309:                              ;   in Loop: Header=BB0_142 Depth=1
	global_load_dwordx2 v[9:10], v2, s[2:3] offset:24 glc
	s_waitcnt vmcnt(0)
	buffer_wbinvl1_vol
	global_load_dwordx2 v[3:4], v2, s[2:3] offset:40
	global_load_dwordx2 v[7:8], v2, s[2:3]
	s_waitcnt vmcnt(1)
	v_and_b32_e32 v1, v3, v9
	v_and_b32_e32 v3, v4, v10
	v_mul_lo_u32 v3, v3, 24
	v_mul_hi_u32 v4, v1, 24
	v_mul_lo_u32 v1, v1, 24
	v_add_u32_e32 v4, v4, v3
	s_waitcnt vmcnt(0)
	v_add_co_u32_e32 v3, vcc, v7, v1
	v_addc_co_u32_e32 v4, vcc, v8, v4, vcc
	global_load_dwordx2 v[7:8], v[3:4], off glc
	s_waitcnt vmcnt(0)
	global_atomic_cmpswap_x2 v[3:4], v2, v[7:10], s[2:3] offset:24 glc
	s_waitcnt vmcnt(0)
	buffer_wbinvl1_vol
	v_cmp_ne_u64_e32 vcc, v[3:4], v[9:10]
	s_and_saveexec_b64 s[28:29], vcc
	s_cbranch_execz .LBB0_313
; %bb.310:                              ;   in Loop: Header=BB0_142 Depth=1
	s_mov_b64 s[30:31], 0
.LBB0_311:                              ;   Parent Loop BB0_142 Depth=1
                                        ; =>  This Inner Loop Header: Depth=2
	s_sleep 1
	global_load_dwordx2 v[7:8], v2, s[2:3] offset:40
	global_load_dwordx2 v[11:12], v2, s[2:3]
	v_mov_b32_e32 v10, v4
	v_mov_b32_e32 v9, v3
	s_waitcnt vmcnt(1)
	v_and_b32_e32 v1, v7, v9
	s_waitcnt vmcnt(0)
	v_mad_u64_u32 v[3:4], s[34:35], v1, 24, v[11:12]
	v_and_b32_e32 v7, v8, v10
	v_mov_b32_e32 v1, v4
	v_mad_u64_u32 v[7:8], s[34:35], v7, 24, v[1:2]
	v_mov_b32_e32 v4, v7
	global_load_dwordx2 v[7:8], v[3:4], off glc
	s_waitcnt vmcnt(0)
	global_atomic_cmpswap_x2 v[3:4], v2, v[7:10], s[2:3] offset:24 glc
	s_waitcnt vmcnt(0)
	buffer_wbinvl1_vol
	v_cmp_eq_u64_e32 vcc, v[3:4], v[9:10]
	s_or_b64 s[30:31], vcc, s[30:31]
	s_andn2_b64 exec, exec, s[30:31]
	s_cbranch_execnz .LBB0_311
; %bb.312:                              ;   in Loop: Header=BB0_142 Depth=1
	s_or_b64 exec, exec, s[30:31]
.LBB0_313:                              ;   in Loop: Header=BB0_142 Depth=1
	s_or_b64 exec, exec, s[28:29]
.LBB0_314:                              ;   in Loop: Header=BB0_142 Depth=1
	s_or_b64 exec, exec, s[26:27]
	global_load_dwordx2 v[11:12], v2, s[2:3] offset:40
	global_load_dwordx4 v[7:10], v2, s[2:3]
	v_readfirstlane_b32 s27, v4
	v_readfirstlane_b32 s26, v3
	s_mov_b64 s[28:29], exec
	s_waitcnt vmcnt(1)
	v_readfirstlane_b32 s30, v11
	v_readfirstlane_b32 s31, v12
	s_and_b64 s[30:31], s[30:31], s[26:27]
	s_mul_i32 s34, s31, 24
	s_mul_hi_u32 s35, s30, 24
	s_mul_i32 s36, s30, 24
	s_add_i32 s34, s35, s34
	v_mov_b32_e32 v1, s34
	s_waitcnt vmcnt(0)
	v_add_co_u32_e32 v11, vcc, s36, v7
	v_addc_co_u32_e32 v12, vcc, v8, v1, vcc
	s_and_saveexec_b64 s[34:35], s[0:1]
	s_cbranch_execz .LBB0_316
; %bb.315:                              ;   in Loop: Header=BB0_142 Depth=1
	v_mov_b32_e32 v3, s28
	v_mov_b32_e32 v4, s29
	global_store_dwordx4 v[11:12], v[3:6], off offset:8
.LBB0_316:                              ;   in Loop: Header=BB0_142 Depth=1
	s_or_b64 exec, exec, s[34:35]
	s_lshl_b64 s[28:29], s[30:31], 12
	v_mov_b32_e32 v1, s29
	v_add_co_u32_e32 v13, vcc, s28, v9
	v_addc_co_u32_e32 v14, vcc, v10, v1, vcc
	v_mov_b32_e32 v18, s7
	v_mov_b32_e32 v1, v2
	;; [unrolled: 1-line block ×3, first 2 shown]
	v_readfirstlane_b32 s28, v13
	v_readfirstlane_b32 s29, v14
	v_mov_b32_e32 v17, s6
	v_mov_b32_e32 v16, s5
	;; [unrolled: 1-line block ×3, first 2 shown]
	s_nop 1
	global_store_dwordx4 v32, v[0:3], s[28:29]
	global_store_dwordx4 v32, v[15:18], s[28:29] offset:16
	global_store_dwordx4 v32, v[15:18], s[28:29] offset:32
	;; [unrolled: 1-line block ×3, first 2 shown]
	s_and_saveexec_b64 s[28:29], s[0:1]
	s_cbranch_execz .LBB0_324
; %bb.317:                              ;   in Loop: Header=BB0_142 Depth=1
	global_load_dwordx2 v[17:18], v2, s[2:3] offset:32 glc
	global_load_dwordx2 v[3:4], v2, s[2:3] offset:40
	v_mov_b32_e32 v15, s26
	v_mov_b32_e32 v16, s27
	s_waitcnt vmcnt(0)
	v_readfirstlane_b32 s30, v3
	v_readfirstlane_b32 s31, v4
	s_and_b64 s[30:31], s[30:31], s[26:27]
	s_mul_i32 s31, s31, 24
	s_mul_hi_u32 s34, s30, 24
	s_mul_i32 s30, s30, 24
	s_add_i32 s31, s34, s31
	v_mov_b32_e32 v1, s31
	v_add_co_u32_e32 v3, vcc, s30, v7
	v_addc_co_u32_e32 v4, vcc, v8, v1, vcc
	global_store_dwordx2 v[3:4], v[17:18], off
	s_waitcnt vmcnt(0)
	global_atomic_cmpswap_x2 v[9:10], v2, v[15:18], s[2:3] offset:32 glc
	s_waitcnt vmcnt(0)
	v_cmp_ne_u64_e32 vcc, v[9:10], v[17:18]
	s_and_saveexec_b64 s[30:31], vcc
	s_cbranch_execz .LBB0_320
; %bb.318:                              ;   in Loop: Header=BB0_142 Depth=1
	s_mov_b64 s[34:35], 0
.LBB0_319:                              ;   Parent Loop BB0_142 Depth=1
                                        ; =>  This Inner Loop Header: Depth=2
	s_sleep 1
	global_store_dwordx2 v[3:4], v[9:10], off
	v_mov_b32_e32 v7, s26
	v_mov_b32_e32 v8, s27
	s_waitcnt vmcnt(0)
	global_atomic_cmpswap_x2 v[7:8], v2, v[7:10], s[2:3] offset:32 glc
	s_waitcnt vmcnt(0)
	v_cmp_eq_u64_e32 vcc, v[7:8], v[9:10]
	v_mov_b32_e32 v10, v8
	s_or_b64 s[34:35], vcc, s[34:35]
	v_mov_b32_e32 v9, v7
	s_andn2_b64 exec, exec, s[34:35]
	s_cbranch_execnz .LBB0_319
.LBB0_320:                              ;   in Loop: Header=BB0_142 Depth=1
	s_or_b64 exec, exec, s[30:31]
	global_load_dwordx2 v[3:4], v2, s[2:3] offset:16
	s_mov_b64 s[34:35], exec
	v_mbcnt_lo_u32_b32 v1, s34, 0
	v_mbcnt_hi_u32_b32 v1, s35, v1
	v_cmp_eq_u32_e32 vcc, 0, v1
	s_and_saveexec_b64 s[30:31], vcc
	s_cbranch_execz .LBB0_322
; %bb.321:                              ;   in Loop: Header=BB0_142 Depth=1
	s_bcnt1_i32_b64 s34, s[34:35]
	v_mov_b32_e32 v1, s34
	s_waitcnt vmcnt(0)
	global_atomic_add_x2 v[3:4], v[1:2], off offset:8
.LBB0_322:                              ;   in Loop: Header=BB0_142 Depth=1
	s_or_b64 exec, exec, s[30:31]
	s_waitcnt vmcnt(0)
	global_load_dwordx2 v[7:8], v[3:4], off offset:16
	s_waitcnt vmcnt(0)
	v_cmp_eq_u64_e32 vcc, 0, v[7:8]
	s_cbranch_vccnz .LBB0_324
; %bb.323:                              ;   in Loop: Header=BB0_142 Depth=1
	global_load_dword v1, v[3:4], off offset:24
	s_waitcnt vmcnt(0)
	v_readfirstlane_b32 s30, v1
	s_and_b32 m0, s30, 0xffffff
	global_store_dwordx2 v[7:8], v[1:2], off
	s_sendmsg sendmsg(MSG_INTERRUPT)
.LBB0_324:                              ;   in Loop: Header=BB0_142 Depth=1
	s_or_b64 exec, exec, s[28:29]
	v_add_co_u32_e32 v3, vcc, v13, v32
	v_addc_co_u32_e32 v4, vcc, 0, v14, vcc
	s_branch .LBB0_328
.LBB0_325:                              ;   in Loop: Header=BB0_328 Depth=2
	s_or_b64 exec, exec, s[28:29]
	v_readfirstlane_b32 s28, v1
	s_cmp_eq_u32 s28, 0
	s_cbranch_scc1 .LBB0_327
; %bb.326:                              ;   in Loop: Header=BB0_328 Depth=2
	s_sleep 1
	s_cbranch_execnz .LBB0_328
	s_branch .LBB0_330
.LBB0_327:                              ;   in Loop: Header=BB0_142 Depth=1
	s_branch .LBB0_330
.LBB0_328:                              ;   Parent Loop BB0_142 Depth=1
                                        ; =>  This Inner Loop Header: Depth=2
	v_mov_b32_e32 v1, 1
	s_and_saveexec_b64 s[28:29], s[0:1]
	s_cbranch_execz .LBB0_325
; %bb.329:                              ;   in Loop: Header=BB0_328 Depth=2
	global_load_dword v1, v[11:12], off offset:20 glc
	s_waitcnt vmcnt(0)
	buffer_wbinvl1_vol
	v_and_b32_e32 v1, 1, v1
	s_branch .LBB0_325
.LBB0_330:                              ;   in Loop: Header=BB0_142 Depth=1
	global_load_dwordx2 v[11:12], v[3:4], off
	s_and_saveexec_b64 s[28:29], s[0:1]
	s_cbranch_execz .LBB0_334
; %bb.331:                              ;   in Loop: Header=BB0_142 Depth=1
	global_load_dwordx2 v[3:4], v2, s[2:3] offset:40
	global_load_dwordx2 v[15:16], v2, s[2:3] offset:24 glc
	global_load_dwordx2 v[7:8], v2, s[2:3]
	s_waitcnt vmcnt(2)
	v_readfirstlane_b32 s30, v3
	v_readfirstlane_b32 s31, v4
	s_add_u32 s34, s30, 1
	s_addc_u32 s35, s31, 0
	s_add_u32 s0, s34, s26
	s_addc_u32 s1, s35, s27
	s_cmp_eq_u64 s[0:1], 0
	s_cselect_b32 s1, s35, s1
	s_cselect_b32 s0, s34, s0
	s_and_b64 s[26:27], s[0:1], s[30:31]
	s_mul_i32 s27, s27, 24
	s_mul_hi_u32 s30, s26, 24
	s_mul_i32 s26, s26, 24
	s_add_i32 s27, s30, s27
	v_mov_b32_e32 v1, s27
	s_waitcnt vmcnt(0)
	v_add_co_u32_e32 v3, vcc, s26, v7
	v_addc_co_u32_e32 v4, vcc, v8, v1, vcc
	v_mov_b32_e32 v13, s0
	global_store_dwordx2 v[3:4], v[15:16], off
	v_mov_b32_e32 v14, s1
	s_waitcnt vmcnt(0)
	global_atomic_cmpswap_x2 v[9:10], v2, v[13:16], s[2:3] offset:24 glc
	s_waitcnt vmcnt(0)
	v_cmp_ne_u64_e32 vcc, v[9:10], v[15:16]
	s_and_b64 exec, exec, vcc
	s_cbranch_execz .LBB0_334
; %bb.332:                              ;   in Loop: Header=BB0_142 Depth=1
	s_mov_b64 s[26:27], 0
.LBB0_333:                              ;   Parent Loop BB0_142 Depth=1
                                        ; =>  This Inner Loop Header: Depth=2
	s_sleep 1
	global_store_dwordx2 v[3:4], v[9:10], off
	v_mov_b32_e32 v7, s0
	v_mov_b32_e32 v8, s1
	s_waitcnt vmcnt(0)
	global_atomic_cmpswap_x2 v[7:8], v2, v[7:10], s[2:3] offset:24 glc
	s_waitcnt vmcnt(0)
	v_cmp_eq_u64_e32 vcc, v[7:8], v[9:10]
	v_mov_b32_e32 v10, v8
	s_or_b64 s[26:27], vcc, s[26:27]
	v_mov_b32_e32 v9, v7
	s_andn2_b64 exec, exec, s[26:27]
	s_cbranch_execnz .LBB0_333
.LBB0_334:                              ;   in Loop: Header=BB0_142 Depth=1
	s_or_b64 exec, exec, s[28:29]
	s_and_b64 vcc, exec, s[22:23]
	s_cbranch_vccz .LBB0_420
; %bb.335:                              ;   in Loop: Header=BB0_142 Depth=1
	s_waitcnt vmcnt(0)
	v_and_b32_e32 v7, -3, v11
	v_mov_b32_e32 v8, v12
	s_mov_b64 s[28:29], 6
	s_getpc_b64 s[26:27]
	s_add_u32 s26, s26, .str.2@rel32@lo+4
	s_addc_u32 s27, s27, .str.2@rel32@hi+12
	s_branch .LBB0_337
.LBB0_336:                              ;   in Loop: Header=BB0_337 Depth=2
	s_or_b64 exec, exec, s[36:37]
	s_sub_u32 s28, s28, s30
	s_subb_u32 s29, s29, s31
	s_add_u32 s26, s26, s30
	s_addc_u32 s27, s27, s31
	s_cmp_lg_u64 s[28:29], 0
	s_cbranch_scc0 .LBB0_419
.LBB0_337:                              ;   Parent Loop BB0_142 Depth=1
                                        ; =>  This Loop Header: Depth=2
                                        ;       Child Loop BB0_340 Depth 3
                                        ;       Child Loop BB0_348 Depth 3
	;; [unrolled: 1-line block ×11, first 2 shown]
	v_cmp_lt_u64_e64 s[0:1], s[28:29], 56
	v_cmp_gt_u64_e64 s[34:35], s[28:29], 7
	s_and_b64 s[0:1], s[0:1], exec
	s_cselect_b32 s31, s29, 0
	s_cselect_b32 s30, s28, 56
	s_add_u32 s0, s26, 8
	s_addc_u32 s1, s27, 0
	s_and_b64 vcc, exec, s[34:35]
	s_cbranch_vccnz .LBB0_341
; %bb.338:                              ;   in Loop: Header=BB0_337 Depth=2
	s_cmp_eq_u64 s[28:29], 0
	s_cbranch_scc1 .LBB0_342
; %bb.339:                              ;   in Loop: Header=BB0_337 Depth=2
	v_mov_b32_e32 v9, 0
	s_lshl_b64 s[0:1], s[30:31], 3
	s_mov_b64 s[34:35], 0
	v_mov_b32_e32 v10, 0
	s_mov_b64 s[36:37], s[26:27]
.LBB0_340:                              ;   Parent Loop BB0_142 Depth=1
                                        ;     Parent Loop BB0_337 Depth=2
                                        ; =>    This Inner Loop Header: Depth=3
	global_load_ubyte v1, v2, s[36:37]
	s_waitcnt vmcnt(0)
	v_and_b32_e32 v1, 0xffff, v1
	v_lshlrev_b64 v[3:4], s34, v[1:2]
	s_add_u32 s34, s34, 8
	s_addc_u32 s35, s35, 0
	s_add_u32 s36, s36, 1
	s_addc_u32 s37, s37, 0
	v_or_b32_e32 v9, v3, v9
	s_cmp_lg_u32 s0, s34
	v_or_b32_e32 v10, v4, v10
	s_cbranch_scc1 .LBB0_340
	s_branch .LBB0_343
.LBB0_341:                              ;   in Loop: Header=BB0_337 Depth=2
	s_mov_b32 s38, 0
	s_branch .LBB0_344
.LBB0_342:                              ;   in Loop: Header=BB0_337 Depth=2
	v_mov_b32_e32 v9, 0
	v_mov_b32_e32 v10, 0
.LBB0_343:                              ;   in Loop: Header=BB0_337 Depth=2
	s_mov_b64 s[0:1], s[26:27]
	s_mov_b32 s38, 0
	s_cbranch_execnz .LBB0_345
.LBB0_344:                              ;   in Loop: Header=BB0_337 Depth=2
	global_load_dwordx2 v[9:10], v2, s[26:27]
	s_add_i32 s38, s30, -8
.LBB0_345:                              ;   in Loop: Header=BB0_337 Depth=2
	s_add_u32 s34, s0, 8
	s_addc_u32 s35, s1, 0
	s_cmp_gt_u32 s38, 7
	s_cbranch_scc1 .LBB0_349
; %bb.346:                              ;   in Loop: Header=BB0_337 Depth=2
	s_cmp_eq_u32 s38, 0
	s_cbranch_scc1 .LBB0_350
; %bb.347:                              ;   in Loop: Header=BB0_337 Depth=2
	v_mov_b32_e32 v13, 0
	s_mov_b64 s[34:35], 0
	v_mov_b32_e32 v14, 0
	s_mov_b64 s[36:37], 0
.LBB0_348:                              ;   Parent Loop BB0_142 Depth=1
                                        ;     Parent Loop BB0_337 Depth=2
                                        ; =>    This Inner Loop Header: Depth=3
	s_add_u32 s40, s0, s36
	s_addc_u32 s41, s1, s37
	global_load_ubyte v1, v2, s[40:41]
	s_add_u32 s36, s36, 1
	s_addc_u32 s37, s37, 0
	s_waitcnt vmcnt(0)
	v_and_b32_e32 v1, 0xffff, v1
	v_lshlrev_b64 v[3:4], s34, v[1:2]
	s_add_u32 s34, s34, 8
	s_addc_u32 s35, s35, 0
	v_or_b32_e32 v13, v3, v13
	s_cmp_lg_u32 s38, s36
	v_or_b32_e32 v14, v4, v14
	s_cbranch_scc1 .LBB0_348
	s_branch .LBB0_351
.LBB0_349:                              ;   in Loop: Header=BB0_337 Depth=2
                                        ; implicit-def: $vgpr13_vgpr14
	s_mov_b32 s39, 0
	s_branch .LBB0_352
.LBB0_350:                              ;   in Loop: Header=BB0_337 Depth=2
	v_mov_b32_e32 v13, 0
	v_mov_b32_e32 v14, 0
.LBB0_351:                              ;   in Loop: Header=BB0_337 Depth=2
	s_mov_b64 s[34:35], s[0:1]
	s_mov_b32 s39, 0
	s_cbranch_execnz .LBB0_353
.LBB0_352:                              ;   in Loop: Header=BB0_337 Depth=2
	global_load_dwordx2 v[13:14], v2, s[0:1]
	s_add_i32 s39, s38, -8
.LBB0_353:                              ;   in Loop: Header=BB0_337 Depth=2
	s_add_u32 s0, s34, 8
	s_addc_u32 s1, s35, 0
	s_cmp_gt_u32 s39, 7
	s_cbranch_scc1 .LBB0_357
; %bb.354:                              ;   in Loop: Header=BB0_337 Depth=2
	s_cmp_eq_u32 s39, 0
	s_cbranch_scc1 .LBB0_358
; %bb.355:                              ;   in Loop: Header=BB0_337 Depth=2
	v_mov_b32_e32 v15, 0
	s_mov_b64 s[0:1], 0
	v_mov_b32_e32 v16, 0
	s_mov_b64 s[36:37], 0
.LBB0_356:                              ;   Parent Loop BB0_142 Depth=1
                                        ;     Parent Loop BB0_337 Depth=2
                                        ; =>    This Inner Loop Header: Depth=3
	s_add_u32 s40, s34, s36
	s_addc_u32 s41, s35, s37
	global_load_ubyte v1, v2, s[40:41]
	s_add_u32 s36, s36, 1
	s_addc_u32 s37, s37, 0
	s_waitcnt vmcnt(0)
	v_and_b32_e32 v1, 0xffff, v1
	v_lshlrev_b64 v[3:4], s0, v[1:2]
	s_add_u32 s0, s0, 8
	s_addc_u32 s1, s1, 0
	v_or_b32_e32 v15, v3, v15
	s_cmp_lg_u32 s39, s36
	v_or_b32_e32 v16, v4, v16
	s_cbranch_scc1 .LBB0_356
	s_branch .LBB0_359
.LBB0_357:                              ;   in Loop: Header=BB0_337 Depth=2
	s_mov_b32 s38, 0
	s_branch .LBB0_360
.LBB0_358:                              ;   in Loop: Header=BB0_337 Depth=2
	v_mov_b32_e32 v15, 0
	v_mov_b32_e32 v16, 0
.LBB0_359:                              ;   in Loop: Header=BB0_337 Depth=2
	s_mov_b64 s[0:1], s[34:35]
	s_mov_b32 s38, 0
	s_cbranch_execnz .LBB0_361
.LBB0_360:                              ;   in Loop: Header=BB0_337 Depth=2
	global_load_dwordx2 v[15:16], v2, s[34:35]
	s_add_i32 s38, s39, -8
.LBB0_361:                              ;   in Loop: Header=BB0_337 Depth=2
	s_add_u32 s34, s0, 8
	s_addc_u32 s35, s1, 0
	s_cmp_gt_u32 s38, 7
	s_cbranch_scc1 .LBB0_365
; %bb.362:                              ;   in Loop: Header=BB0_337 Depth=2
	s_cmp_eq_u32 s38, 0
	s_cbranch_scc1 .LBB0_366
; %bb.363:                              ;   in Loop: Header=BB0_337 Depth=2
	v_mov_b32_e32 v17, 0
	s_mov_b64 s[34:35], 0
	v_mov_b32_e32 v18, 0
	s_mov_b64 s[36:37], 0
.LBB0_364:                              ;   Parent Loop BB0_142 Depth=1
                                        ;     Parent Loop BB0_337 Depth=2
                                        ; =>    This Inner Loop Header: Depth=3
	s_add_u32 s40, s0, s36
	s_addc_u32 s41, s1, s37
	global_load_ubyte v1, v2, s[40:41]
	s_add_u32 s36, s36, 1
	s_addc_u32 s37, s37, 0
	s_waitcnt vmcnt(0)
	v_and_b32_e32 v1, 0xffff, v1
	v_lshlrev_b64 v[3:4], s34, v[1:2]
	s_add_u32 s34, s34, 8
	s_addc_u32 s35, s35, 0
	v_or_b32_e32 v17, v3, v17
	s_cmp_lg_u32 s38, s36
	v_or_b32_e32 v18, v4, v18
	s_cbranch_scc1 .LBB0_364
	s_branch .LBB0_367
.LBB0_365:                              ;   in Loop: Header=BB0_337 Depth=2
                                        ; implicit-def: $vgpr17_vgpr18
	s_mov_b32 s39, 0
	s_branch .LBB0_368
.LBB0_366:                              ;   in Loop: Header=BB0_337 Depth=2
	v_mov_b32_e32 v17, 0
	v_mov_b32_e32 v18, 0
.LBB0_367:                              ;   in Loop: Header=BB0_337 Depth=2
	s_mov_b64 s[34:35], s[0:1]
	s_mov_b32 s39, 0
	s_cbranch_execnz .LBB0_369
.LBB0_368:                              ;   in Loop: Header=BB0_337 Depth=2
	global_load_dwordx2 v[17:18], v2, s[0:1]
	s_add_i32 s39, s38, -8
.LBB0_369:                              ;   in Loop: Header=BB0_337 Depth=2
	s_add_u32 s0, s34, 8
	s_addc_u32 s1, s35, 0
	s_cmp_gt_u32 s39, 7
	s_cbranch_scc1 .LBB0_373
; %bb.370:                              ;   in Loop: Header=BB0_337 Depth=2
	s_cmp_eq_u32 s39, 0
	s_cbranch_scc1 .LBB0_374
; %bb.371:                              ;   in Loop: Header=BB0_337 Depth=2
	v_mov_b32_e32 v19, 0
	s_mov_b64 s[0:1], 0
	v_mov_b32_e32 v20, 0
	s_mov_b64 s[36:37], 0
.LBB0_372:                              ;   Parent Loop BB0_142 Depth=1
                                        ;     Parent Loop BB0_337 Depth=2
                                        ; =>    This Inner Loop Header: Depth=3
	s_add_u32 s40, s34, s36
	s_addc_u32 s41, s35, s37
	global_load_ubyte v1, v2, s[40:41]
	s_add_u32 s36, s36, 1
	s_addc_u32 s37, s37, 0
	s_waitcnt vmcnt(0)
	v_and_b32_e32 v1, 0xffff, v1
	v_lshlrev_b64 v[3:4], s0, v[1:2]
	s_add_u32 s0, s0, 8
	s_addc_u32 s1, s1, 0
	v_or_b32_e32 v19, v3, v19
	s_cmp_lg_u32 s39, s36
	v_or_b32_e32 v20, v4, v20
	s_cbranch_scc1 .LBB0_372
	s_branch .LBB0_375
.LBB0_373:                              ;   in Loop: Header=BB0_337 Depth=2
	s_mov_b32 s38, 0
	s_branch .LBB0_376
.LBB0_374:                              ;   in Loop: Header=BB0_337 Depth=2
	v_mov_b32_e32 v19, 0
	v_mov_b32_e32 v20, 0
.LBB0_375:                              ;   in Loop: Header=BB0_337 Depth=2
	s_mov_b64 s[0:1], s[34:35]
	s_mov_b32 s38, 0
	s_cbranch_execnz .LBB0_377
.LBB0_376:                              ;   in Loop: Header=BB0_337 Depth=2
	global_load_dwordx2 v[19:20], v2, s[34:35]
	s_add_i32 s38, s39, -8
.LBB0_377:                              ;   in Loop: Header=BB0_337 Depth=2
	s_add_u32 s34, s0, 8
	s_addc_u32 s35, s1, 0
	s_cmp_gt_u32 s38, 7
	s_cbranch_scc1 .LBB0_381
; %bb.378:                              ;   in Loop: Header=BB0_337 Depth=2
	s_cmp_eq_u32 s38, 0
	s_cbranch_scc1 .LBB0_382
; %bb.379:                              ;   in Loop: Header=BB0_337 Depth=2
	v_mov_b32_e32 v21, 0
	s_mov_b64 s[34:35], 0
	v_mov_b32_e32 v22, 0
	s_mov_b64 s[36:37], 0
.LBB0_380:                              ;   Parent Loop BB0_142 Depth=1
                                        ;     Parent Loop BB0_337 Depth=2
                                        ; =>    This Inner Loop Header: Depth=3
	s_add_u32 s40, s0, s36
	s_addc_u32 s41, s1, s37
	global_load_ubyte v1, v2, s[40:41]
	s_add_u32 s36, s36, 1
	s_addc_u32 s37, s37, 0
	s_waitcnt vmcnt(0)
	v_and_b32_e32 v1, 0xffff, v1
	v_lshlrev_b64 v[3:4], s34, v[1:2]
	s_add_u32 s34, s34, 8
	s_addc_u32 s35, s35, 0
	v_or_b32_e32 v21, v3, v21
	s_cmp_lg_u32 s38, s36
	v_or_b32_e32 v22, v4, v22
	s_cbranch_scc1 .LBB0_380
	s_branch .LBB0_383
.LBB0_381:                              ;   in Loop: Header=BB0_337 Depth=2
                                        ; implicit-def: $vgpr21_vgpr22
	s_mov_b32 s39, 0
	s_branch .LBB0_384
.LBB0_382:                              ;   in Loop: Header=BB0_337 Depth=2
	v_mov_b32_e32 v21, 0
	v_mov_b32_e32 v22, 0
.LBB0_383:                              ;   in Loop: Header=BB0_337 Depth=2
	s_mov_b64 s[34:35], s[0:1]
	s_mov_b32 s39, 0
	s_cbranch_execnz .LBB0_385
.LBB0_384:                              ;   in Loop: Header=BB0_337 Depth=2
	global_load_dwordx2 v[21:22], v2, s[0:1]
	s_add_i32 s39, s38, -8
.LBB0_385:                              ;   in Loop: Header=BB0_337 Depth=2
	s_cmp_gt_u32 s39, 7
	s_cbranch_scc1 .LBB0_389
; %bb.386:                              ;   in Loop: Header=BB0_337 Depth=2
	s_cmp_eq_u32 s39, 0
	s_cbranch_scc1 .LBB0_390
; %bb.387:                              ;   in Loop: Header=BB0_337 Depth=2
	v_mov_b32_e32 v23, 0
	s_mov_b64 s[0:1], 0
	v_mov_b32_e32 v24, 0
	s_mov_b64 s[36:37], s[34:35]
.LBB0_388:                              ;   Parent Loop BB0_142 Depth=1
                                        ;     Parent Loop BB0_337 Depth=2
                                        ; =>    This Inner Loop Header: Depth=3
	global_load_ubyte v1, v2, s[36:37]
	s_add_i32 s39, s39, -1
	s_waitcnt vmcnt(0)
	v_and_b32_e32 v1, 0xffff, v1
	v_lshlrev_b64 v[3:4], s0, v[1:2]
	s_add_u32 s0, s0, 8
	s_addc_u32 s1, s1, 0
	s_add_u32 s36, s36, 1
	s_addc_u32 s37, s37, 0
	v_or_b32_e32 v23, v3, v23
	s_cmp_lg_u32 s39, 0
	v_or_b32_e32 v24, v4, v24
	s_cbranch_scc1 .LBB0_388
	s_branch .LBB0_391
.LBB0_389:                              ;   in Loop: Header=BB0_337 Depth=2
	s_branch .LBB0_392
.LBB0_390:                              ;   in Loop: Header=BB0_337 Depth=2
	v_mov_b32_e32 v23, 0
	v_mov_b32_e32 v24, 0
.LBB0_391:                              ;   in Loop: Header=BB0_337 Depth=2
	s_cbranch_execnz .LBB0_393
.LBB0_392:                              ;   in Loop: Header=BB0_337 Depth=2
	global_load_dwordx2 v[23:24], v2, s[34:35]
.LBB0_393:                              ;   in Loop: Header=BB0_337 Depth=2
	v_readfirstlane_b32 s0, v31
	v_mov_b32_e32 v3, 0
	v_mov_b32_e32 v4, 0
	v_cmp_eq_u32_e64 s[0:1], s0, v31
	s_and_saveexec_b64 s[34:35], s[0:1]
	s_cbranch_execz .LBB0_399
; %bb.394:                              ;   in Loop: Header=BB0_337 Depth=2
	global_load_dwordx2 v[27:28], v2, s[2:3] offset:24 glc
	s_waitcnt vmcnt(0)
	buffer_wbinvl1_vol
	global_load_dwordx2 v[3:4], v2, s[2:3] offset:40
	global_load_dwordx2 v[25:26], v2, s[2:3]
	s_waitcnt vmcnt(1)
	v_and_b32_e32 v1, v3, v27
	v_and_b32_e32 v3, v4, v28
	v_mul_lo_u32 v3, v3, 24
	v_mul_hi_u32 v4, v1, 24
	v_mul_lo_u32 v1, v1, 24
	v_add_u32_e32 v4, v4, v3
	s_waitcnt vmcnt(0)
	v_add_co_u32_e32 v3, vcc, v25, v1
	v_addc_co_u32_e32 v4, vcc, v26, v4, vcc
	global_load_dwordx2 v[25:26], v[3:4], off glc
	s_waitcnt vmcnt(0)
	global_atomic_cmpswap_x2 v[3:4], v2, v[25:28], s[2:3] offset:24 glc
	s_waitcnt vmcnt(0)
	buffer_wbinvl1_vol
	v_cmp_ne_u64_e32 vcc, v[3:4], v[27:28]
	s_and_saveexec_b64 s[36:37], vcc
	s_cbranch_execz .LBB0_398
; %bb.395:                              ;   in Loop: Header=BB0_337 Depth=2
	s_mov_b64 s[38:39], 0
.LBB0_396:                              ;   Parent Loop BB0_142 Depth=1
                                        ;     Parent Loop BB0_337 Depth=2
                                        ; =>    This Inner Loop Header: Depth=3
	s_sleep 1
	global_load_dwordx2 v[25:26], v2, s[2:3] offset:40
	global_load_dwordx2 v[29:30], v2, s[2:3]
	v_mov_b32_e32 v28, v4
	v_mov_b32_e32 v27, v3
	s_waitcnt vmcnt(1)
	v_and_b32_e32 v1, v25, v27
	s_waitcnt vmcnt(0)
	v_mad_u64_u32 v[3:4], s[40:41], v1, 24, v[29:30]
	v_and_b32_e32 v25, v26, v28
	v_mov_b32_e32 v1, v4
	v_mad_u64_u32 v[25:26], s[40:41], v25, 24, v[1:2]
	v_mov_b32_e32 v4, v25
	global_load_dwordx2 v[25:26], v[3:4], off glc
	s_waitcnt vmcnt(0)
	global_atomic_cmpswap_x2 v[3:4], v2, v[25:28], s[2:3] offset:24 glc
	s_waitcnt vmcnt(0)
	buffer_wbinvl1_vol
	v_cmp_eq_u64_e32 vcc, v[3:4], v[27:28]
	s_or_b64 s[38:39], vcc, s[38:39]
	s_andn2_b64 exec, exec, s[38:39]
	s_cbranch_execnz .LBB0_396
; %bb.397:                              ;   in Loop: Header=BB0_337 Depth=2
	s_or_b64 exec, exec, s[38:39]
.LBB0_398:                              ;   in Loop: Header=BB0_337 Depth=2
	s_or_b64 exec, exec, s[36:37]
.LBB0_399:                              ;   in Loop: Header=BB0_337 Depth=2
	s_or_b64 exec, exec, s[34:35]
	global_load_dwordx2 v[29:30], v2, s[2:3] offset:40
	global_load_dwordx4 v[25:28], v2, s[2:3]
	v_readfirstlane_b32 s35, v4
	v_readfirstlane_b32 s34, v3
	s_mov_b64 s[36:37], exec
	s_waitcnt vmcnt(1)
	v_readfirstlane_b32 s38, v29
	v_readfirstlane_b32 s39, v30
	s_and_b64 s[38:39], s[38:39], s[34:35]
	s_mul_i32 s40, s39, 24
	s_mul_hi_u32 s41, s38, 24
	s_mul_i32 s42, s38, 24
	s_add_i32 s40, s41, s40
	v_mov_b32_e32 v1, s40
	s_waitcnt vmcnt(0)
	v_add_co_u32_e32 v29, vcc, s42, v25
	v_addc_co_u32_e32 v30, vcc, v26, v1, vcc
	s_and_saveexec_b64 s[40:41], s[0:1]
	s_cbranch_execz .LBB0_401
; %bb.400:                              ;   in Loop: Header=BB0_337 Depth=2
	v_mov_b32_e32 v3, s36
	v_mov_b32_e32 v4, s37
	global_store_dwordx4 v[29:30], v[3:6], off offset:8
.LBB0_401:                              ;   in Loop: Header=BB0_337 Depth=2
	s_or_b64 exec, exec, s[40:41]
	s_lshl_b64 s[36:37], s[38:39], 12
	v_mov_b32_e32 v1, s37
	v_add_co_u32_e32 v27, vcc, s36, v27
	v_addc_co_u32_e32 v28, vcc, v28, v1, vcc
	v_cmp_lt_u64_e64 vcc, s[28:29], 57
	v_and_b32_e32 v1, 2, v11
	s_lshl_b32 s36, s30, 2
	v_cndmask_b32_e32 v1, 0, v1, vcc
	s_add_i32 s36, s36, 28
	v_and_b32_e32 v3, 0xffffff1f, v7
	s_and_b32 s36, s36, 0x1e0
	v_or_b32_e32 v1, v3, v1
	v_or_b32_e32 v7, s36, v1
	v_readfirstlane_b32 s36, v27
	v_readfirstlane_b32 s37, v28
	s_nop 4
	global_store_dwordx4 v32, v[7:10], s[36:37]
	global_store_dwordx4 v32, v[13:16], s[36:37] offset:16
	global_store_dwordx4 v32, v[17:20], s[36:37] offset:32
	;; [unrolled: 1-line block ×3, first 2 shown]
	s_and_saveexec_b64 s[36:37], s[0:1]
	s_cbranch_execz .LBB0_409
; %bb.402:                              ;   in Loop: Header=BB0_337 Depth=2
	global_load_dwordx2 v[15:16], v2, s[2:3] offset:32 glc
	global_load_dwordx2 v[3:4], v2, s[2:3] offset:40
	v_mov_b32_e32 v13, s34
	v_mov_b32_e32 v14, s35
	s_waitcnt vmcnt(0)
	v_readfirstlane_b32 s38, v3
	v_readfirstlane_b32 s39, v4
	s_and_b64 s[38:39], s[38:39], s[34:35]
	s_mul_i32 s39, s39, 24
	s_mul_hi_u32 s40, s38, 24
	s_mul_i32 s38, s38, 24
	s_add_i32 s39, s40, s39
	v_mov_b32_e32 v1, s39
	v_add_co_u32_e32 v3, vcc, s38, v25
	v_addc_co_u32_e32 v4, vcc, v26, v1, vcc
	global_store_dwordx2 v[3:4], v[15:16], off
	s_waitcnt vmcnt(0)
	global_atomic_cmpswap_x2 v[9:10], v2, v[13:16], s[2:3] offset:32 glc
	s_waitcnt vmcnt(0)
	v_cmp_ne_u64_e32 vcc, v[9:10], v[15:16]
	s_and_saveexec_b64 s[38:39], vcc
	s_cbranch_execz .LBB0_405
; %bb.403:                              ;   in Loop: Header=BB0_337 Depth=2
	s_mov_b64 s[40:41], 0
.LBB0_404:                              ;   Parent Loop BB0_142 Depth=1
                                        ;     Parent Loop BB0_337 Depth=2
                                        ; =>    This Inner Loop Header: Depth=3
	s_sleep 1
	global_store_dwordx2 v[3:4], v[9:10], off
	v_mov_b32_e32 v7, s34
	v_mov_b32_e32 v8, s35
	s_waitcnt vmcnt(0)
	global_atomic_cmpswap_x2 v[7:8], v2, v[7:10], s[2:3] offset:32 glc
	s_waitcnt vmcnt(0)
	v_cmp_eq_u64_e32 vcc, v[7:8], v[9:10]
	v_mov_b32_e32 v10, v8
	s_or_b64 s[40:41], vcc, s[40:41]
	v_mov_b32_e32 v9, v7
	s_andn2_b64 exec, exec, s[40:41]
	s_cbranch_execnz .LBB0_404
.LBB0_405:                              ;   in Loop: Header=BB0_337 Depth=2
	s_or_b64 exec, exec, s[38:39]
	global_load_dwordx2 v[3:4], v2, s[2:3] offset:16
	s_mov_b64 s[40:41], exec
	v_mbcnt_lo_u32_b32 v1, s40, 0
	v_mbcnt_hi_u32_b32 v1, s41, v1
	v_cmp_eq_u32_e32 vcc, 0, v1
	s_and_saveexec_b64 s[38:39], vcc
	s_cbranch_execz .LBB0_407
; %bb.406:                              ;   in Loop: Header=BB0_337 Depth=2
	s_bcnt1_i32_b64 s40, s[40:41]
	v_mov_b32_e32 v1, s40
	s_waitcnt vmcnt(0)
	global_atomic_add_x2 v[3:4], v[1:2], off offset:8
.LBB0_407:                              ;   in Loop: Header=BB0_337 Depth=2
	s_or_b64 exec, exec, s[38:39]
	s_waitcnt vmcnt(0)
	global_load_dwordx2 v[7:8], v[3:4], off offset:16
	s_waitcnt vmcnt(0)
	v_cmp_eq_u64_e32 vcc, 0, v[7:8]
	s_cbranch_vccnz .LBB0_409
; %bb.408:                              ;   in Loop: Header=BB0_337 Depth=2
	global_load_dword v1, v[3:4], off offset:24
	s_waitcnt vmcnt(0)
	v_readfirstlane_b32 s38, v1
	s_and_b32 m0, s38, 0xffffff
	global_store_dwordx2 v[7:8], v[1:2], off
	s_sendmsg sendmsg(MSG_INTERRUPT)
.LBB0_409:                              ;   in Loop: Header=BB0_337 Depth=2
	s_or_b64 exec, exec, s[36:37]
	v_add_co_u32_e32 v3, vcc, v27, v32
	v_addc_co_u32_e32 v4, vcc, 0, v28, vcc
	s_branch .LBB0_413
.LBB0_410:                              ;   in Loop: Header=BB0_413 Depth=3
	s_or_b64 exec, exec, s[36:37]
	v_readfirstlane_b32 s36, v1
	s_cmp_eq_u32 s36, 0
	s_cbranch_scc1 .LBB0_412
; %bb.411:                              ;   in Loop: Header=BB0_413 Depth=3
	s_sleep 1
	s_cbranch_execnz .LBB0_413
	s_branch .LBB0_415
.LBB0_412:                              ;   in Loop: Header=BB0_337 Depth=2
	s_branch .LBB0_415
.LBB0_413:                              ;   Parent Loop BB0_142 Depth=1
                                        ;     Parent Loop BB0_337 Depth=2
                                        ; =>    This Inner Loop Header: Depth=3
	v_mov_b32_e32 v1, 1
	s_and_saveexec_b64 s[36:37], s[0:1]
	s_cbranch_execz .LBB0_410
; %bb.414:                              ;   in Loop: Header=BB0_413 Depth=3
	global_load_dword v1, v[29:30], off offset:20 glc
	s_waitcnt vmcnt(0)
	buffer_wbinvl1_vol
	v_and_b32_e32 v1, 1, v1
	s_branch .LBB0_410
.LBB0_415:                              ;   in Loop: Header=BB0_337 Depth=2
	global_load_dwordx2 v[7:8], v[3:4], off
	s_and_saveexec_b64 s[36:37], s[0:1]
	s_cbranch_execz .LBB0_336
; %bb.416:                              ;   in Loop: Header=BB0_337 Depth=2
	global_load_dwordx2 v[3:4], v2, s[2:3] offset:40
	global_load_dwordx2 v[17:18], v2, s[2:3] offset:24 glc
	global_load_dwordx2 v[9:10], v2, s[2:3]
	s_waitcnt vmcnt(2)
	v_readfirstlane_b32 s38, v3
	v_readfirstlane_b32 s39, v4
	s_add_u32 s40, s38, 1
	s_addc_u32 s41, s39, 0
	s_add_u32 s0, s40, s34
	s_addc_u32 s1, s41, s35
	s_cmp_eq_u64 s[0:1], 0
	s_cselect_b32 s1, s41, s1
	s_cselect_b32 s0, s40, s0
	s_and_b64 s[34:35], s[0:1], s[38:39]
	s_mul_i32 s35, s35, 24
	s_mul_hi_u32 s38, s34, 24
	s_mul_i32 s34, s34, 24
	s_add_i32 s35, s38, s35
	v_mov_b32_e32 v1, s35
	s_waitcnt vmcnt(0)
	v_add_co_u32_e32 v3, vcc, s34, v9
	v_addc_co_u32_e32 v4, vcc, v10, v1, vcc
	v_mov_b32_e32 v15, s0
	global_store_dwordx2 v[3:4], v[17:18], off
	v_mov_b32_e32 v16, s1
	s_waitcnt vmcnt(0)
	global_atomic_cmpswap_x2 v[15:16], v2, v[15:18], s[2:3] offset:24 glc
	s_waitcnt vmcnt(0)
	v_cmp_ne_u64_e32 vcc, v[15:16], v[17:18]
	s_and_b64 exec, exec, vcc
	s_cbranch_execz .LBB0_336
; %bb.417:                              ;   in Loop: Header=BB0_337 Depth=2
	s_mov_b64 s[34:35], 0
.LBB0_418:                              ;   Parent Loop BB0_142 Depth=1
                                        ;     Parent Loop BB0_337 Depth=2
                                        ; =>    This Inner Loop Header: Depth=3
	s_sleep 1
	global_store_dwordx2 v[3:4], v[15:16], off
	v_mov_b32_e32 v13, s0
	v_mov_b32_e32 v14, s1
	s_waitcnt vmcnt(0)
	global_atomic_cmpswap_x2 v[9:10], v2, v[13:16], s[2:3] offset:24 glc
	s_waitcnt vmcnt(0)
	v_cmp_eq_u64_e32 vcc, v[9:10], v[15:16]
	v_mov_b32_e32 v16, v10
	s_or_b64 s[34:35], vcc, s[34:35]
	v_mov_b32_e32 v15, v9
	s_andn2_b64 exec, exec, s[34:35]
	s_cbranch_execnz .LBB0_418
	s_branch .LBB0_336
.LBB0_419:                              ;   in Loop: Header=BB0_142 Depth=1
	s_branch .LBB0_448
.LBB0_420:                              ;   in Loop: Header=BB0_142 Depth=1
                                        ; implicit-def: $vgpr7_vgpr8
	s_cbranch_execz .LBB0_448
; %bb.421:                              ;   in Loop: Header=BB0_142 Depth=1
	v_readfirstlane_b32 s0, v31
	v_mov_b32_e32 v3, 0
	v_mov_b32_e32 v4, 0
	v_cmp_eq_u32_e64 s[0:1], s0, v31
	s_and_saveexec_b64 s[26:27], s[0:1]
	s_cbranch_execz .LBB0_427
; %bb.422:                              ;   in Loop: Header=BB0_142 Depth=1
	global_load_dwordx2 v[9:10], v2, s[2:3] offset:24 glc
	s_waitcnt vmcnt(0)
	buffer_wbinvl1_vol
	global_load_dwordx2 v[3:4], v2, s[2:3] offset:40
	global_load_dwordx2 v[7:8], v2, s[2:3]
	s_waitcnt vmcnt(1)
	v_and_b32_e32 v1, v3, v9
	v_and_b32_e32 v3, v4, v10
	v_mul_lo_u32 v3, v3, 24
	v_mul_hi_u32 v4, v1, 24
	v_mul_lo_u32 v1, v1, 24
	v_add_u32_e32 v4, v4, v3
	s_waitcnt vmcnt(0)
	v_add_co_u32_e32 v3, vcc, v7, v1
	v_addc_co_u32_e32 v4, vcc, v8, v4, vcc
	global_load_dwordx2 v[7:8], v[3:4], off glc
	s_waitcnt vmcnt(0)
	global_atomic_cmpswap_x2 v[3:4], v2, v[7:10], s[2:3] offset:24 glc
	s_waitcnt vmcnt(0)
	buffer_wbinvl1_vol
	v_cmp_ne_u64_e32 vcc, v[3:4], v[9:10]
	s_and_saveexec_b64 s[28:29], vcc
	s_cbranch_execz .LBB0_426
; %bb.423:                              ;   in Loop: Header=BB0_142 Depth=1
	s_mov_b64 s[30:31], 0
.LBB0_424:                              ;   Parent Loop BB0_142 Depth=1
                                        ; =>  This Inner Loop Header: Depth=2
	s_sleep 1
	global_load_dwordx2 v[7:8], v2, s[2:3] offset:40
	global_load_dwordx2 v[13:14], v2, s[2:3]
	v_mov_b32_e32 v10, v4
	v_mov_b32_e32 v9, v3
	s_waitcnt vmcnt(1)
	v_and_b32_e32 v1, v7, v9
	s_waitcnt vmcnt(0)
	v_mad_u64_u32 v[3:4], s[34:35], v1, 24, v[13:14]
	v_and_b32_e32 v7, v8, v10
	v_mov_b32_e32 v1, v4
	v_mad_u64_u32 v[7:8], s[34:35], v7, 24, v[1:2]
	v_mov_b32_e32 v4, v7
	global_load_dwordx2 v[7:8], v[3:4], off glc
	s_waitcnt vmcnt(0)
	global_atomic_cmpswap_x2 v[3:4], v2, v[7:10], s[2:3] offset:24 glc
	s_waitcnt vmcnt(0)
	buffer_wbinvl1_vol
	v_cmp_eq_u64_e32 vcc, v[3:4], v[9:10]
	s_or_b64 s[30:31], vcc, s[30:31]
	s_andn2_b64 exec, exec, s[30:31]
	s_cbranch_execnz .LBB0_424
; %bb.425:                              ;   in Loop: Header=BB0_142 Depth=1
	s_or_b64 exec, exec, s[30:31]
.LBB0_426:                              ;   in Loop: Header=BB0_142 Depth=1
	s_or_b64 exec, exec, s[28:29]
.LBB0_427:                              ;   in Loop: Header=BB0_142 Depth=1
	s_or_b64 exec, exec, s[26:27]
	global_load_dwordx2 v[13:14], v2, s[2:3] offset:40
	global_load_dwordx4 v[7:10], v2, s[2:3]
	v_readfirstlane_b32 s27, v4
	v_readfirstlane_b32 s26, v3
	s_mov_b64 s[28:29], exec
	s_waitcnt vmcnt(1)
	v_readfirstlane_b32 s30, v13
	v_readfirstlane_b32 s31, v14
	s_and_b64 s[30:31], s[30:31], s[26:27]
	s_mul_i32 s34, s31, 24
	s_mul_hi_u32 s35, s30, 24
	s_mul_i32 s36, s30, 24
	s_add_i32 s34, s35, s34
	v_mov_b32_e32 v1, s34
	s_waitcnt vmcnt(0)
	v_add_co_u32_e32 v15, vcc, s36, v7
	v_addc_co_u32_e32 v16, vcc, v8, v1, vcc
	s_and_saveexec_b64 s[34:35], s[0:1]
	s_cbranch_execz .LBB0_429
; %bb.428:                              ;   in Loop: Header=BB0_142 Depth=1
	v_mov_b32_e32 v3, s28
	v_mov_b32_e32 v4, s29
	global_store_dwordx4 v[15:16], v[3:6], off offset:8
.LBB0_429:                              ;   in Loop: Header=BB0_142 Depth=1
	s_or_b64 exec, exec, s[34:35]
	s_lshl_b64 s[28:29], s[30:31], 12
	v_mov_b32_e32 v1, s29
	v_add_co_u32_e32 v17, vcc, s28, v9
	v_addc_co_u32_e32 v18, vcc, v10, v1, vcc
	v_and_or_b32 v11, v11, s8, 32
	v_mov_b32_e32 v13, v2
	v_mov_b32_e32 v14, v2
	v_readfirstlane_b32 s28, v17
	v_readfirstlane_b32 s29, v18
	s_nop 4
	global_store_dwordx4 v32, v[11:14], s[28:29]
	s_nop 0
	v_mov_b32_e32 v12, s7
	v_mov_b32_e32 v11, s6
	v_mov_b32_e32 v10, s5
	v_mov_b32_e32 v9, s4
	global_store_dwordx4 v32, v[9:12], s[28:29] offset:16
	global_store_dwordx4 v32, v[9:12], s[28:29] offset:32
	;; [unrolled: 1-line block ×3, first 2 shown]
	s_and_saveexec_b64 s[28:29], s[0:1]
	s_cbranch_execz .LBB0_437
; %bb.430:                              ;   in Loop: Header=BB0_142 Depth=1
	global_load_dwordx2 v[11:12], v2, s[2:3] offset:32 glc
	global_load_dwordx2 v[3:4], v2, s[2:3] offset:40
	v_mov_b32_e32 v9, s26
	v_mov_b32_e32 v10, s27
	s_waitcnt vmcnt(0)
	v_readfirstlane_b32 s30, v3
	v_readfirstlane_b32 s31, v4
	s_and_b64 s[30:31], s[30:31], s[26:27]
	s_mul_i32 s31, s31, 24
	s_mul_hi_u32 s34, s30, 24
	s_mul_i32 s30, s30, 24
	s_add_i32 s31, s34, s31
	v_mov_b32_e32 v1, s31
	v_add_co_u32_e32 v3, vcc, s30, v7
	v_addc_co_u32_e32 v4, vcc, v8, v1, vcc
	global_store_dwordx2 v[3:4], v[11:12], off
	s_waitcnt vmcnt(0)
	global_atomic_cmpswap_x2 v[9:10], v2, v[9:12], s[2:3] offset:32 glc
	s_waitcnt vmcnt(0)
	v_cmp_ne_u64_e32 vcc, v[9:10], v[11:12]
	s_and_saveexec_b64 s[30:31], vcc
	s_cbranch_execz .LBB0_433
; %bb.431:                              ;   in Loop: Header=BB0_142 Depth=1
	s_mov_b64 s[34:35], 0
.LBB0_432:                              ;   Parent Loop BB0_142 Depth=1
                                        ; =>  This Inner Loop Header: Depth=2
	s_sleep 1
	global_store_dwordx2 v[3:4], v[9:10], off
	v_mov_b32_e32 v7, s26
	v_mov_b32_e32 v8, s27
	s_waitcnt vmcnt(0)
	global_atomic_cmpswap_x2 v[7:8], v2, v[7:10], s[2:3] offset:32 glc
	s_waitcnt vmcnt(0)
	v_cmp_eq_u64_e32 vcc, v[7:8], v[9:10]
	v_mov_b32_e32 v10, v8
	s_or_b64 s[34:35], vcc, s[34:35]
	v_mov_b32_e32 v9, v7
	s_andn2_b64 exec, exec, s[34:35]
	s_cbranch_execnz .LBB0_432
.LBB0_433:                              ;   in Loop: Header=BB0_142 Depth=1
	s_or_b64 exec, exec, s[30:31]
	global_load_dwordx2 v[3:4], v2, s[2:3] offset:16
	s_mov_b64 s[34:35], exec
	v_mbcnt_lo_u32_b32 v1, s34, 0
	v_mbcnt_hi_u32_b32 v1, s35, v1
	v_cmp_eq_u32_e32 vcc, 0, v1
	s_and_saveexec_b64 s[30:31], vcc
	s_cbranch_execz .LBB0_435
; %bb.434:                              ;   in Loop: Header=BB0_142 Depth=1
	s_bcnt1_i32_b64 s34, s[34:35]
	v_mov_b32_e32 v1, s34
	s_waitcnt vmcnt(0)
	global_atomic_add_x2 v[3:4], v[1:2], off offset:8
.LBB0_435:                              ;   in Loop: Header=BB0_142 Depth=1
	s_or_b64 exec, exec, s[30:31]
	s_waitcnt vmcnt(0)
	global_load_dwordx2 v[7:8], v[3:4], off offset:16
	s_waitcnt vmcnt(0)
	v_cmp_eq_u64_e32 vcc, 0, v[7:8]
	s_cbranch_vccnz .LBB0_437
; %bb.436:                              ;   in Loop: Header=BB0_142 Depth=1
	global_load_dword v1, v[3:4], off offset:24
	s_waitcnt vmcnt(0)
	v_readfirstlane_b32 s30, v1
	s_and_b32 m0, s30, 0xffffff
	global_store_dwordx2 v[7:8], v[1:2], off
	s_sendmsg sendmsg(MSG_INTERRUPT)
.LBB0_437:                              ;   in Loop: Header=BB0_142 Depth=1
	s_or_b64 exec, exec, s[28:29]
	v_add_co_u32_e32 v3, vcc, v17, v32
	v_addc_co_u32_e32 v4, vcc, 0, v18, vcc
	s_branch .LBB0_441
.LBB0_438:                              ;   in Loop: Header=BB0_441 Depth=2
	s_or_b64 exec, exec, s[28:29]
	v_readfirstlane_b32 s28, v1
	s_cmp_eq_u32 s28, 0
	s_cbranch_scc1 .LBB0_440
; %bb.439:                              ;   in Loop: Header=BB0_441 Depth=2
	s_sleep 1
	s_cbranch_execnz .LBB0_441
	s_branch .LBB0_443
.LBB0_440:                              ;   in Loop: Header=BB0_142 Depth=1
	s_branch .LBB0_443
.LBB0_441:                              ;   Parent Loop BB0_142 Depth=1
                                        ; =>  This Inner Loop Header: Depth=2
	v_mov_b32_e32 v1, 1
	s_and_saveexec_b64 s[28:29], s[0:1]
	s_cbranch_execz .LBB0_438
; %bb.442:                              ;   in Loop: Header=BB0_441 Depth=2
	global_load_dword v1, v[15:16], off offset:20 glc
	s_waitcnt vmcnt(0)
	buffer_wbinvl1_vol
	v_and_b32_e32 v1, 1, v1
	s_branch .LBB0_438
.LBB0_443:                              ;   in Loop: Header=BB0_142 Depth=1
	global_load_dwordx2 v[7:8], v[3:4], off
	s_and_saveexec_b64 s[28:29], s[0:1]
	s_cbranch_execz .LBB0_447
; %bb.444:                              ;   in Loop: Header=BB0_142 Depth=1
	global_load_dwordx2 v[3:4], v2, s[2:3] offset:40
	global_load_dwordx2 v[13:14], v2, s[2:3] offset:24 glc
	global_load_dwordx2 v[9:10], v2, s[2:3]
	s_waitcnt vmcnt(2)
	v_readfirstlane_b32 s30, v3
	v_readfirstlane_b32 s31, v4
	s_add_u32 s34, s30, 1
	s_addc_u32 s35, s31, 0
	s_add_u32 s0, s34, s26
	s_addc_u32 s1, s35, s27
	s_cmp_eq_u64 s[0:1], 0
	s_cselect_b32 s1, s35, s1
	s_cselect_b32 s0, s34, s0
	s_and_b64 s[26:27], s[0:1], s[30:31]
	s_mul_i32 s27, s27, 24
	s_mul_hi_u32 s30, s26, 24
	s_mul_i32 s26, s26, 24
	s_add_i32 s27, s30, s27
	v_mov_b32_e32 v1, s27
	s_waitcnt vmcnt(0)
	v_add_co_u32_e32 v3, vcc, s26, v9
	v_addc_co_u32_e32 v4, vcc, v10, v1, vcc
	v_mov_b32_e32 v11, s0
	global_store_dwordx2 v[3:4], v[13:14], off
	v_mov_b32_e32 v12, s1
	s_waitcnt vmcnt(0)
	global_atomic_cmpswap_x2 v[11:12], v2, v[11:14], s[2:3] offset:24 glc
	s_waitcnt vmcnt(0)
	v_cmp_ne_u64_e32 vcc, v[11:12], v[13:14]
	s_and_b64 exec, exec, vcc
	s_cbranch_execz .LBB0_447
; %bb.445:                              ;   in Loop: Header=BB0_142 Depth=1
	s_mov_b64 s[26:27], 0
.LBB0_446:                              ;   Parent Loop BB0_142 Depth=1
                                        ; =>  This Inner Loop Header: Depth=2
	s_sleep 1
	global_store_dwordx2 v[3:4], v[11:12], off
	v_mov_b32_e32 v9, s0
	v_mov_b32_e32 v10, s1
	s_waitcnt vmcnt(0)
	global_atomic_cmpswap_x2 v[9:10], v2, v[9:12], s[2:3] offset:24 glc
	s_waitcnt vmcnt(0)
	v_cmp_eq_u64_e32 vcc, v[9:10], v[11:12]
	v_mov_b32_e32 v12, v10
	s_or_b64 s[26:27], vcc, s[26:27]
	v_mov_b32_e32 v11, v9
	s_andn2_b64 exec, exec, s[26:27]
	s_cbranch_execnz .LBB0_446
.LBB0_447:                              ;   in Loop: Header=BB0_142 Depth=1
	s_or_b64 exec, exec, s[28:29]
.LBB0_448:                              ;   in Loop: Header=BB0_142 Depth=1
	s_and_b32 s28, s33, 1
	s_getpc_b64 s[0:1]
	s_add_u32 s0, s0, .str.4@rel32@lo+4
	s_addc_u32 s1, s1, .str.4@rel32@hi+12
	s_getpc_b64 s[26:27]
	s_add_u32 s26, s26, .str.3@rel32@lo+4
	s_addc_u32 s27, s27, .str.3@rel32@hi+12
	s_cmp_eq_u32 s28, 0
	s_cselect_b32 s27, s1, s27
	s_cselect_b32 s26, s0, s26
	s_cmp_lg_u64 s[26:27], 0
	s_cselect_b64 s[0:1], -1, 0
	s_cmp_eq_u64 s[26:27], 0
	s_mov_b64 s[28:29], 0
	s_cbranch_scc1 .LBB0_452
; %bb.449:                              ;   in Loop: Header=BB0_142 Depth=1
	s_add_u32 s28, s26, -1
	s_addc_u32 s29, s27, -1
.LBB0_450:                              ;   Parent Loop BB0_142 Depth=1
                                        ; =>  This Inner Loop Header: Depth=2
	global_load_ubyte v1, v2, s[28:29] offset:1
	s_add_u32 s30, s28, 1
	s_addc_u32 s31, s29, 0
	s_mov_b64 s[28:29], s[30:31]
	s_waitcnt vmcnt(0)
	v_cmp_ne_u32_e32 vcc, 0, v1
	s_cbranch_vccnz .LBB0_450
; %bb.451:                              ;   in Loop: Header=BB0_142 Depth=1
	s_sub_u32 s28, s30, s26
	s_subb_u32 s29, s31, s27
	s_add_u32 s28, s28, 1
	s_addc_u32 s29, s29, 0
.LBB0_452:                              ;   in Loop: Header=BB0_142 Depth=1
	s_and_b64 vcc, exec, s[0:1]
	s_cbranch_vccz .LBB0_538
; %bb.453:                              ;   in Loop: Header=BB0_142 Depth=1
	s_waitcnt vmcnt(0)
	v_and_b32_e32 v9, -3, v7
	v_mov_b32_e32 v10, v8
	s_branch .LBB0_455
.LBB0_454:                              ;   in Loop: Header=BB0_455 Depth=2
	s_or_b64 exec, exec, s[36:37]
	s_sub_u32 s28, s28, s30
	s_subb_u32 s29, s29, s31
	s_add_u32 s26, s26, s30
	s_addc_u32 s27, s27, s31
	s_cmp_lg_u64 s[28:29], 0
	s_cbranch_scc0 .LBB0_537
.LBB0_455:                              ;   Parent Loop BB0_142 Depth=1
                                        ; =>  This Loop Header: Depth=2
                                        ;       Child Loop BB0_458 Depth 3
                                        ;       Child Loop BB0_466 Depth 3
	;; [unrolled: 1-line block ×11, first 2 shown]
	v_cmp_lt_u64_e64 s[0:1], s[28:29], 56
	v_cmp_gt_u64_e64 s[34:35], s[28:29], 7
	s_and_b64 s[0:1], s[0:1], exec
	s_cselect_b32 s31, s29, 0
	s_cselect_b32 s30, s28, 56
	s_add_u32 s0, s26, 8
	s_addc_u32 s1, s27, 0
	s_and_b64 vcc, exec, s[34:35]
	s_cbranch_vccnz .LBB0_459
; %bb.456:                              ;   in Loop: Header=BB0_455 Depth=2
	s_cmp_eq_u64 s[28:29], 0
	s_cbranch_scc1 .LBB0_460
; %bb.457:                              ;   in Loop: Header=BB0_455 Depth=2
	v_mov_b32_e32 v11, 0
	s_lshl_b64 s[0:1], s[30:31], 3
	s_mov_b64 s[34:35], 0
	v_mov_b32_e32 v12, 0
	s_mov_b64 s[36:37], s[26:27]
.LBB0_458:                              ;   Parent Loop BB0_142 Depth=1
                                        ;     Parent Loop BB0_455 Depth=2
                                        ; =>    This Inner Loop Header: Depth=3
	global_load_ubyte v1, v2, s[36:37]
	s_waitcnt vmcnt(0)
	v_and_b32_e32 v1, 0xffff, v1
	v_lshlrev_b64 v[3:4], s34, v[1:2]
	s_add_u32 s34, s34, 8
	s_addc_u32 s35, s35, 0
	s_add_u32 s36, s36, 1
	s_addc_u32 s37, s37, 0
	v_or_b32_e32 v11, v3, v11
	s_cmp_lg_u32 s0, s34
	v_or_b32_e32 v12, v4, v12
	s_cbranch_scc1 .LBB0_458
	s_branch .LBB0_461
.LBB0_459:                              ;   in Loop: Header=BB0_455 Depth=2
	s_mov_b32 s38, 0
	s_branch .LBB0_462
.LBB0_460:                              ;   in Loop: Header=BB0_455 Depth=2
	v_mov_b32_e32 v11, 0
	v_mov_b32_e32 v12, 0
.LBB0_461:                              ;   in Loop: Header=BB0_455 Depth=2
	s_mov_b64 s[0:1], s[26:27]
	s_mov_b32 s38, 0
	s_cbranch_execnz .LBB0_463
.LBB0_462:                              ;   in Loop: Header=BB0_455 Depth=2
	global_load_dwordx2 v[11:12], v2, s[26:27]
	s_add_i32 s38, s30, -8
.LBB0_463:                              ;   in Loop: Header=BB0_455 Depth=2
	s_add_u32 s34, s0, 8
	s_addc_u32 s35, s1, 0
	s_cmp_gt_u32 s38, 7
	s_cbranch_scc1 .LBB0_467
; %bb.464:                              ;   in Loop: Header=BB0_455 Depth=2
	s_cmp_eq_u32 s38, 0
	s_cbranch_scc1 .LBB0_468
; %bb.465:                              ;   in Loop: Header=BB0_455 Depth=2
	v_mov_b32_e32 v13, 0
	s_mov_b64 s[34:35], 0
	v_mov_b32_e32 v14, 0
	s_mov_b64 s[36:37], 0
.LBB0_466:                              ;   Parent Loop BB0_142 Depth=1
                                        ;     Parent Loop BB0_455 Depth=2
                                        ; =>    This Inner Loop Header: Depth=3
	s_add_u32 s40, s0, s36
	s_addc_u32 s41, s1, s37
	global_load_ubyte v1, v2, s[40:41]
	s_add_u32 s36, s36, 1
	s_addc_u32 s37, s37, 0
	s_waitcnt vmcnt(0)
	v_and_b32_e32 v1, 0xffff, v1
	v_lshlrev_b64 v[3:4], s34, v[1:2]
	s_add_u32 s34, s34, 8
	s_addc_u32 s35, s35, 0
	v_or_b32_e32 v13, v3, v13
	s_cmp_lg_u32 s38, s36
	v_or_b32_e32 v14, v4, v14
	s_cbranch_scc1 .LBB0_466
	s_branch .LBB0_469
.LBB0_467:                              ;   in Loop: Header=BB0_455 Depth=2
                                        ; implicit-def: $vgpr13_vgpr14
	s_mov_b32 s39, 0
	s_branch .LBB0_470
.LBB0_468:                              ;   in Loop: Header=BB0_455 Depth=2
	v_mov_b32_e32 v13, 0
	v_mov_b32_e32 v14, 0
.LBB0_469:                              ;   in Loop: Header=BB0_455 Depth=2
	s_mov_b64 s[34:35], s[0:1]
	s_mov_b32 s39, 0
	s_cbranch_execnz .LBB0_471
.LBB0_470:                              ;   in Loop: Header=BB0_455 Depth=2
	global_load_dwordx2 v[13:14], v2, s[0:1]
	s_add_i32 s39, s38, -8
.LBB0_471:                              ;   in Loop: Header=BB0_455 Depth=2
	s_add_u32 s0, s34, 8
	s_addc_u32 s1, s35, 0
	s_cmp_gt_u32 s39, 7
	s_cbranch_scc1 .LBB0_475
; %bb.472:                              ;   in Loop: Header=BB0_455 Depth=2
	s_cmp_eq_u32 s39, 0
	s_cbranch_scc1 .LBB0_476
; %bb.473:                              ;   in Loop: Header=BB0_455 Depth=2
	v_mov_b32_e32 v15, 0
	s_mov_b64 s[0:1], 0
	v_mov_b32_e32 v16, 0
	s_mov_b64 s[36:37], 0
.LBB0_474:                              ;   Parent Loop BB0_142 Depth=1
                                        ;     Parent Loop BB0_455 Depth=2
                                        ; =>    This Inner Loop Header: Depth=3
	s_add_u32 s40, s34, s36
	s_addc_u32 s41, s35, s37
	global_load_ubyte v1, v2, s[40:41]
	s_add_u32 s36, s36, 1
	s_addc_u32 s37, s37, 0
	s_waitcnt vmcnt(0)
	v_and_b32_e32 v1, 0xffff, v1
	v_lshlrev_b64 v[3:4], s0, v[1:2]
	s_add_u32 s0, s0, 8
	s_addc_u32 s1, s1, 0
	v_or_b32_e32 v15, v3, v15
	s_cmp_lg_u32 s39, s36
	v_or_b32_e32 v16, v4, v16
	s_cbranch_scc1 .LBB0_474
	s_branch .LBB0_477
.LBB0_475:                              ;   in Loop: Header=BB0_455 Depth=2
	s_mov_b32 s38, 0
	s_branch .LBB0_478
.LBB0_476:                              ;   in Loop: Header=BB0_455 Depth=2
	v_mov_b32_e32 v15, 0
	v_mov_b32_e32 v16, 0
.LBB0_477:                              ;   in Loop: Header=BB0_455 Depth=2
	s_mov_b64 s[0:1], s[34:35]
	s_mov_b32 s38, 0
	s_cbranch_execnz .LBB0_479
.LBB0_478:                              ;   in Loop: Header=BB0_455 Depth=2
	global_load_dwordx2 v[15:16], v2, s[34:35]
	s_add_i32 s38, s39, -8
.LBB0_479:                              ;   in Loop: Header=BB0_455 Depth=2
	s_add_u32 s34, s0, 8
	s_addc_u32 s35, s1, 0
	s_cmp_gt_u32 s38, 7
	s_cbranch_scc1 .LBB0_483
; %bb.480:                              ;   in Loop: Header=BB0_455 Depth=2
	s_cmp_eq_u32 s38, 0
	s_cbranch_scc1 .LBB0_484
; %bb.481:                              ;   in Loop: Header=BB0_455 Depth=2
	v_mov_b32_e32 v17, 0
	s_mov_b64 s[34:35], 0
	v_mov_b32_e32 v18, 0
	s_mov_b64 s[36:37], 0
.LBB0_482:                              ;   Parent Loop BB0_142 Depth=1
                                        ;     Parent Loop BB0_455 Depth=2
                                        ; =>    This Inner Loop Header: Depth=3
	s_add_u32 s40, s0, s36
	s_addc_u32 s41, s1, s37
	global_load_ubyte v1, v2, s[40:41]
	s_add_u32 s36, s36, 1
	s_addc_u32 s37, s37, 0
	s_waitcnt vmcnt(0)
	v_and_b32_e32 v1, 0xffff, v1
	v_lshlrev_b64 v[3:4], s34, v[1:2]
	s_add_u32 s34, s34, 8
	s_addc_u32 s35, s35, 0
	v_or_b32_e32 v17, v3, v17
	s_cmp_lg_u32 s38, s36
	v_or_b32_e32 v18, v4, v18
	s_cbranch_scc1 .LBB0_482
	s_branch .LBB0_485
.LBB0_483:                              ;   in Loop: Header=BB0_455 Depth=2
                                        ; implicit-def: $vgpr17_vgpr18
	s_mov_b32 s39, 0
	s_branch .LBB0_486
.LBB0_484:                              ;   in Loop: Header=BB0_455 Depth=2
	v_mov_b32_e32 v17, 0
	v_mov_b32_e32 v18, 0
.LBB0_485:                              ;   in Loop: Header=BB0_455 Depth=2
	s_mov_b64 s[34:35], s[0:1]
	s_mov_b32 s39, 0
	s_cbranch_execnz .LBB0_487
.LBB0_486:                              ;   in Loop: Header=BB0_455 Depth=2
	global_load_dwordx2 v[17:18], v2, s[0:1]
	s_add_i32 s39, s38, -8
.LBB0_487:                              ;   in Loop: Header=BB0_455 Depth=2
	s_add_u32 s0, s34, 8
	s_addc_u32 s1, s35, 0
	s_cmp_gt_u32 s39, 7
	s_cbranch_scc1 .LBB0_491
; %bb.488:                              ;   in Loop: Header=BB0_455 Depth=2
	s_cmp_eq_u32 s39, 0
	s_cbranch_scc1 .LBB0_492
; %bb.489:                              ;   in Loop: Header=BB0_455 Depth=2
	v_mov_b32_e32 v19, 0
	s_mov_b64 s[0:1], 0
	v_mov_b32_e32 v20, 0
	s_mov_b64 s[36:37], 0
.LBB0_490:                              ;   Parent Loop BB0_142 Depth=1
                                        ;     Parent Loop BB0_455 Depth=2
                                        ; =>    This Inner Loop Header: Depth=3
	s_add_u32 s40, s34, s36
	s_addc_u32 s41, s35, s37
	global_load_ubyte v1, v2, s[40:41]
	s_add_u32 s36, s36, 1
	s_addc_u32 s37, s37, 0
	s_waitcnt vmcnt(0)
	v_and_b32_e32 v1, 0xffff, v1
	v_lshlrev_b64 v[3:4], s0, v[1:2]
	s_add_u32 s0, s0, 8
	s_addc_u32 s1, s1, 0
	v_or_b32_e32 v19, v3, v19
	s_cmp_lg_u32 s39, s36
	v_or_b32_e32 v20, v4, v20
	s_cbranch_scc1 .LBB0_490
	s_branch .LBB0_493
.LBB0_491:                              ;   in Loop: Header=BB0_455 Depth=2
	s_mov_b32 s38, 0
	s_branch .LBB0_494
.LBB0_492:                              ;   in Loop: Header=BB0_455 Depth=2
	v_mov_b32_e32 v19, 0
	v_mov_b32_e32 v20, 0
.LBB0_493:                              ;   in Loop: Header=BB0_455 Depth=2
	s_mov_b64 s[0:1], s[34:35]
	s_mov_b32 s38, 0
	s_cbranch_execnz .LBB0_495
.LBB0_494:                              ;   in Loop: Header=BB0_455 Depth=2
	global_load_dwordx2 v[19:20], v2, s[34:35]
	s_add_i32 s38, s39, -8
.LBB0_495:                              ;   in Loop: Header=BB0_455 Depth=2
	s_add_u32 s34, s0, 8
	s_addc_u32 s35, s1, 0
	s_cmp_gt_u32 s38, 7
	s_cbranch_scc1 .LBB0_499
; %bb.496:                              ;   in Loop: Header=BB0_455 Depth=2
	s_cmp_eq_u32 s38, 0
	s_cbranch_scc1 .LBB0_500
; %bb.497:                              ;   in Loop: Header=BB0_455 Depth=2
	v_mov_b32_e32 v21, 0
	s_mov_b64 s[34:35], 0
	v_mov_b32_e32 v22, 0
	s_mov_b64 s[36:37], 0
.LBB0_498:                              ;   Parent Loop BB0_142 Depth=1
                                        ;     Parent Loop BB0_455 Depth=2
                                        ; =>    This Inner Loop Header: Depth=3
	s_add_u32 s40, s0, s36
	s_addc_u32 s41, s1, s37
	global_load_ubyte v1, v2, s[40:41]
	s_add_u32 s36, s36, 1
	s_addc_u32 s37, s37, 0
	s_waitcnt vmcnt(0)
	v_and_b32_e32 v1, 0xffff, v1
	v_lshlrev_b64 v[3:4], s34, v[1:2]
	s_add_u32 s34, s34, 8
	s_addc_u32 s35, s35, 0
	v_or_b32_e32 v21, v3, v21
	s_cmp_lg_u32 s38, s36
	v_or_b32_e32 v22, v4, v22
	s_cbranch_scc1 .LBB0_498
	s_branch .LBB0_501
.LBB0_499:                              ;   in Loop: Header=BB0_455 Depth=2
                                        ; implicit-def: $vgpr21_vgpr22
	s_mov_b32 s39, 0
	s_branch .LBB0_502
.LBB0_500:                              ;   in Loop: Header=BB0_455 Depth=2
	v_mov_b32_e32 v21, 0
	v_mov_b32_e32 v22, 0
.LBB0_501:                              ;   in Loop: Header=BB0_455 Depth=2
	s_mov_b64 s[34:35], s[0:1]
	s_mov_b32 s39, 0
	s_cbranch_execnz .LBB0_503
.LBB0_502:                              ;   in Loop: Header=BB0_455 Depth=2
	global_load_dwordx2 v[21:22], v2, s[0:1]
	s_add_i32 s39, s38, -8
.LBB0_503:                              ;   in Loop: Header=BB0_455 Depth=2
	s_cmp_gt_u32 s39, 7
	s_cbranch_scc1 .LBB0_507
; %bb.504:                              ;   in Loop: Header=BB0_455 Depth=2
	s_cmp_eq_u32 s39, 0
	s_cbranch_scc1 .LBB0_508
; %bb.505:                              ;   in Loop: Header=BB0_455 Depth=2
	v_mov_b32_e32 v23, 0
	s_mov_b64 s[0:1], 0
	v_mov_b32_e32 v24, 0
	s_mov_b64 s[36:37], s[34:35]
.LBB0_506:                              ;   Parent Loop BB0_142 Depth=1
                                        ;     Parent Loop BB0_455 Depth=2
                                        ; =>    This Inner Loop Header: Depth=3
	global_load_ubyte v1, v2, s[36:37]
	s_add_i32 s39, s39, -1
	s_waitcnt vmcnt(0)
	v_and_b32_e32 v1, 0xffff, v1
	v_lshlrev_b64 v[3:4], s0, v[1:2]
	s_add_u32 s0, s0, 8
	s_addc_u32 s1, s1, 0
	s_add_u32 s36, s36, 1
	s_addc_u32 s37, s37, 0
	v_or_b32_e32 v23, v3, v23
	s_cmp_lg_u32 s39, 0
	v_or_b32_e32 v24, v4, v24
	s_cbranch_scc1 .LBB0_506
	s_branch .LBB0_509
.LBB0_507:                              ;   in Loop: Header=BB0_455 Depth=2
	s_branch .LBB0_510
.LBB0_508:                              ;   in Loop: Header=BB0_455 Depth=2
	v_mov_b32_e32 v23, 0
	v_mov_b32_e32 v24, 0
.LBB0_509:                              ;   in Loop: Header=BB0_455 Depth=2
	s_cbranch_execnz .LBB0_511
.LBB0_510:                              ;   in Loop: Header=BB0_455 Depth=2
	global_load_dwordx2 v[23:24], v2, s[34:35]
.LBB0_511:                              ;   in Loop: Header=BB0_455 Depth=2
	v_readfirstlane_b32 s0, v31
	v_mov_b32_e32 v3, 0
	v_mov_b32_e32 v4, 0
	v_cmp_eq_u32_e64 s[0:1], s0, v31
	s_and_saveexec_b64 s[34:35], s[0:1]
	s_cbranch_execz .LBB0_517
; %bb.512:                              ;   in Loop: Header=BB0_455 Depth=2
	global_load_dwordx2 v[27:28], v2, s[2:3] offset:24 glc
	s_waitcnt vmcnt(0)
	buffer_wbinvl1_vol
	global_load_dwordx2 v[3:4], v2, s[2:3] offset:40
	global_load_dwordx2 v[25:26], v2, s[2:3]
	s_waitcnt vmcnt(1)
	v_and_b32_e32 v1, v3, v27
	v_and_b32_e32 v3, v4, v28
	v_mul_lo_u32 v3, v3, 24
	v_mul_hi_u32 v4, v1, 24
	v_mul_lo_u32 v1, v1, 24
	v_add_u32_e32 v4, v4, v3
	s_waitcnt vmcnt(0)
	v_add_co_u32_e32 v3, vcc, v25, v1
	v_addc_co_u32_e32 v4, vcc, v26, v4, vcc
	global_load_dwordx2 v[25:26], v[3:4], off glc
	s_waitcnt vmcnt(0)
	global_atomic_cmpswap_x2 v[3:4], v2, v[25:28], s[2:3] offset:24 glc
	s_waitcnt vmcnt(0)
	buffer_wbinvl1_vol
	v_cmp_ne_u64_e32 vcc, v[3:4], v[27:28]
	s_and_saveexec_b64 s[36:37], vcc
	s_cbranch_execz .LBB0_516
; %bb.513:                              ;   in Loop: Header=BB0_455 Depth=2
	s_mov_b64 s[38:39], 0
.LBB0_514:                              ;   Parent Loop BB0_142 Depth=1
                                        ;     Parent Loop BB0_455 Depth=2
                                        ; =>    This Inner Loop Header: Depth=3
	s_sleep 1
	global_load_dwordx2 v[25:26], v2, s[2:3] offset:40
	global_load_dwordx2 v[29:30], v2, s[2:3]
	v_mov_b32_e32 v28, v4
	v_mov_b32_e32 v27, v3
	s_waitcnt vmcnt(1)
	v_and_b32_e32 v1, v25, v27
	s_waitcnt vmcnt(0)
	v_mad_u64_u32 v[3:4], s[40:41], v1, 24, v[29:30]
	v_and_b32_e32 v25, v26, v28
	v_mov_b32_e32 v1, v4
	v_mad_u64_u32 v[25:26], s[40:41], v25, 24, v[1:2]
	v_mov_b32_e32 v4, v25
	global_load_dwordx2 v[25:26], v[3:4], off glc
	s_waitcnt vmcnt(0)
	global_atomic_cmpswap_x2 v[3:4], v2, v[25:28], s[2:3] offset:24 glc
	s_waitcnt vmcnt(0)
	buffer_wbinvl1_vol
	v_cmp_eq_u64_e32 vcc, v[3:4], v[27:28]
	s_or_b64 s[38:39], vcc, s[38:39]
	s_andn2_b64 exec, exec, s[38:39]
	s_cbranch_execnz .LBB0_514
; %bb.515:                              ;   in Loop: Header=BB0_455 Depth=2
	s_or_b64 exec, exec, s[38:39]
.LBB0_516:                              ;   in Loop: Header=BB0_455 Depth=2
	s_or_b64 exec, exec, s[36:37]
.LBB0_517:                              ;   in Loop: Header=BB0_455 Depth=2
	s_or_b64 exec, exec, s[34:35]
	global_load_dwordx2 v[29:30], v2, s[2:3] offset:40
	global_load_dwordx4 v[25:28], v2, s[2:3]
	v_readfirstlane_b32 s35, v4
	v_readfirstlane_b32 s34, v3
	s_mov_b64 s[36:37], exec
	s_waitcnt vmcnt(1)
	v_readfirstlane_b32 s38, v29
	v_readfirstlane_b32 s39, v30
	s_and_b64 s[38:39], s[38:39], s[34:35]
	s_mul_i32 s40, s39, 24
	s_mul_hi_u32 s41, s38, 24
	s_mul_i32 s42, s38, 24
	s_add_i32 s40, s41, s40
	v_mov_b32_e32 v1, s40
	s_waitcnt vmcnt(0)
	v_add_co_u32_e32 v29, vcc, s42, v25
	v_addc_co_u32_e32 v30, vcc, v26, v1, vcc
	s_and_saveexec_b64 s[40:41], s[0:1]
	s_cbranch_execz .LBB0_519
; %bb.518:                              ;   in Loop: Header=BB0_455 Depth=2
	v_mov_b32_e32 v3, s36
	v_mov_b32_e32 v4, s37
	global_store_dwordx4 v[29:30], v[3:6], off offset:8
.LBB0_519:                              ;   in Loop: Header=BB0_455 Depth=2
	s_or_b64 exec, exec, s[40:41]
	s_lshl_b64 s[36:37], s[38:39], 12
	v_mov_b32_e32 v1, s37
	v_add_co_u32_e32 v27, vcc, s36, v27
	v_addc_co_u32_e32 v28, vcc, v28, v1, vcc
	v_cmp_lt_u64_e64 vcc, s[28:29], 57
	v_and_b32_e32 v1, 2, v7
	s_lshl_b32 s36, s30, 2
	v_cndmask_b32_e32 v1, 0, v1, vcc
	s_add_i32 s36, s36, 28
	v_and_b32_e32 v3, 0xffffff1f, v9
	s_and_b32 s36, s36, 0x1e0
	v_or_b32_e32 v1, v3, v1
	v_or_b32_e32 v9, s36, v1
	v_readfirstlane_b32 s36, v27
	v_readfirstlane_b32 s37, v28
	s_nop 4
	global_store_dwordx4 v32, v[9:12], s[36:37]
	global_store_dwordx4 v32, v[13:16], s[36:37] offset:16
	global_store_dwordx4 v32, v[17:20], s[36:37] offset:32
	;; [unrolled: 1-line block ×3, first 2 shown]
	s_and_saveexec_b64 s[36:37], s[0:1]
	s_cbranch_execz .LBB0_527
; %bb.520:                              ;   in Loop: Header=BB0_455 Depth=2
	global_load_dwordx2 v[13:14], v2, s[2:3] offset:32 glc
	global_load_dwordx2 v[3:4], v2, s[2:3] offset:40
	v_mov_b32_e32 v11, s34
	v_mov_b32_e32 v12, s35
	s_waitcnt vmcnt(0)
	v_readfirstlane_b32 s38, v3
	v_readfirstlane_b32 s39, v4
	s_and_b64 s[38:39], s[38:39], s[34:35]
	s_mul_i32 s39, s39, 24
	s_mul_hi_u32 s40, s38, 24
	s_mul_i32 s38, s38, 24
	s_add_i32 s39, s40, s39
	v_mov_b32_e32 v1, s39
	v_add_co_u32_e32 v3, vcc, s38, v25
	v_addc_co_u32_e32 v4, vcc, v26, v1, vcc
	global_store_dwordx2 v[3:4], v[13:14], off
	s_waitcnt vmcnt(0)
	global_atomic_cmpswap_x2 v[11:12], v2, v[11:14], s[2:3] offset:32 glc
	s_waitcnt vmcnt(0)
	v_cmp_ne_u64_e32 vcc, v[11:12], v[13:14]
	s_and_saveexec_b64 s[38:39], vcc
	s_cbranch_execz .LBB0_523
; %bb.521:                              ;   in Loop: Header=BB0_455 Depth=2
	s_mov_b64 s[40:41], 0
.LBB0_522:                              ;   Parent Loop BB0_142 Depth=1
                                        ;     Parent Loop BB0_455 Depth=2
                                        ; =>    This Inner Loop Header: Depth=3
	s_sleep 1
	global_store_dwordx2 v[3:4], v[11:12], off
	v_mov_b32_e32 v9, s34
	v_mov_b32_e32 v10, s35
	s_waitcnt vmcnt(0)
	global_atomic_cmpswap_x2 v[9:10], v2, v[9:12], s[2:3] offset:32 glc
	s_waitcnt vmcnt(0)
	v_cmp_eq_u64_e32 vcc, v[9:10], v[11:12]
	v_mov_b32_e32 v12, v10
	s_or_b64 s[40:41], vcc, s[40:41]
	v_mov_b32_e32 v11, v9
	s_andn2_b64 exec, exec, s[40:41]
	s_cbranch_execnz .LBB0_522
.LBB0_523:                              ;   in Loop: Header=BB0_455 Depth=2
	s_or_b64 exec, exec, s[38:39]
	global_load_dwordx2 v[3:4], v2, s[2:3] offset:16
	s_mov_b64 s[40:41], exec
	v_mbcnt_lo_u32_b32 v1, s40, 0
	v_mbcnt_hi_u32_b32 v1, s41, v1
	v_cmp_eq_u32_e32 vcc, 0, v1
	s_and_saveexec_b64 s[38:39], vcc
	s_cbranch_execz .LBB0_525
; %bb.524:                              ;   in Loop: Header=BB0_455 Depth=2
	s_bcnt1_i32_b64 s40, s[40:41]
	v_mov_b32_e32 v1, s40
	s_waitcnt vmcnt(0)
	global_atomic_add_x2 v[3:4], v[1:2], off offset:8
.LBB0_525:                              ;   in Loop: Header=BB0_455 Depth=2
	s_or_b64 exec, exec, s[38:39]
	s_waitcnt vmcnt(0)
	global_load_dwordx2 v[9:10], v[3:4], off offset:16
	s_waitcnt vmcnt(0)
	v_cmp_eq_u64_e32 vcc, 0, v[9:10]
	s_cbranch_vccnz .LBB0_527
; %bb.526:                              ;   in Loop: Header=BB0_455 Depth=2
	global_load_dword v1, v[3:4], off offset:24
	s_waitcnt vmcnt(0)
	v_readfirstlane_b32 s38, v1
	s_and_b32 m0, s38, 0xffffff
	global_store_dwordx2 v[9:10], v[1:2], off
	s_sendmsg sendmsg(MSG_INTERRUPT)
.LBB0_527:                              ;   in Loop: Header=BB0_455 Depth=2
	s_or_b64 exec, exec, s[36:37]
	v_add_co_u32_e32 v3, vcc, v27, v32
	v_addc_co_u32_e32 v4, vcc, 0, v28, vcc
	s_branch .LBB0_531
.LBB0_528:                              ;   in Loop: Header=BB0_531 Depth=3
	s_or_b64 exec, exec, s[36:37]
	v_readfirstlane_b32 s36, v1
	s_cmp_eq_u32 s36, 0
	s_cbranch_scc1 .LBB0_530
; %bb.529:                              ;   in Loop: Header=BB0_531 Depth=3
	s_sleep 1
	s_cbranch_execnz .LBB0_531
	s_branch .LBB0_533
.LBB0_530:                              ;   in Loop: Header=BB0_455 Depth=2
	s_branch .LBB0_533
.LBB0_531:                              ;   Parent Loop BB0_142 Depth=1
                                        ;     Parent Loop BB0_455 Depth=2
                                        ; =>    This Inner Loop Header: Depth=3
	v_mov_b32_e32 v1, 1
	s_and_saveexec_b64 s[36:37], s[0:1]
	s_cbranch_execz .LBB0_528
; %bb.532:                              ;   in Loop: Header=BB0_531 Depth=3
	global_load_dword v1, v[29:30], off offset:20 glc
	s_waitcnt vmcnt(0)
	buffer_wbinvl1_vol
	v_and_b32_e32 v1, 1, v1
	s_branch .LBB0_528
.LBB0_533:                              ;   in Loop: Header=BB0_455 Depth=2
	global_load_dwordx2 v[9:10], v[3:4], off
	s_and_saveexec_b64 s[36:37], s[0:1]
	s_cbranch_execz .LBB0_454
; %bb.534:                              ;   in Loop: Header=BB0_455 Depth=2
	global_load_dwordx2 v[3:4], v2, s[2:3] offset:40
	global_load_dwordx2 v[15:16], v2, s[2:3] offset:24 glc
	global_load_dwordx2 v[11:12], v2, s[2:3]
	s_waitcnt vmcnt(2)
	v_readfirstlane_b32 s38, v3
	v_readfirstlane_b32 s39, v4
	s_add_u32 s40, s38, 1
	s_addc_u32 s41, s39, 0
	s_add_u32 s0, s40, s34
	s_addc_u32 s1, s41, s35
	s_cmp_eq_u64 s[0:1], 0
	s_cselect_b32 s1, s41, s1
	s_cselect_b32 s0, s40, s0
	s_and_b64 s[34:35], s[0:1], s[38:39]
	s_mul_i32 s35, s35, 24
	s_mul_hi_u32 s38, s34, 24
	s_mul_i32 s34, s34, 24
	s_add_i32 s35, s38, s35
	v_mov_b32_e32 v1, s35
	s_waitcnt vmcnt(0)
	v_add_co_u32_e32 v3, vcc, s34, v11
	v_addc_co_u32_e32 v4, vcc, v12, v1, vcc
	v_mov_b32_e32 v13, s0
	global_store_dwordx2 v[3:4], v[15:16], off
	v_mov_b32_e32 v14, s1
	s_waitcnt vmcnt(0)
	global_atomic_cmpswap_x2 v[13:14], v2, v[13:16], s[2:3] offset:24 glc
	s_waitcnt vmcnt(0)
	v_cmp_ne_u64_e32 vcc, v[13:14], v[15:16]
	s_and_b64 exec, exec, vcc
	s_cbranch_execz .LBB0_454
; %bb.535:                              ;   in Loop: Header=BB0_455 Depth=2
	s_mov_b64 s[34:35], 0
.LBB0_536:                              ;   Parent Loop BB0_142 Depth=1
                                        ;     Parent Loop BB0_455 Depth=2
                                        ; =>    This Inner Loop Header: Depth=3
	s_sleep 1
	global_store_dwordx2 v[3:4], v[13:14], off
	v_mov_b32_e32 v11, s0
	v_mov_b32_e32 v12, s1
	s_waitcnt vmcnt(0)
	global_atomic_cmpswap_x2 v[11:12], v2, v[11:14], s[2:3] offset:24 glc
	s_waitcnt vmcnt(0)
	v_cmp_eq_u64_e32 vcc, v[11:12], v[13:14]
	v_mov_b32_e32 v14, v12
	s_or_b64 s[34:35], vcc, s[34:35]
	v_mov_b32_e32 v13, v11
	s_andn2_b64 exec, exec, s[34:35]
	s_cbranch_execnz .LBB0_536
	s_branch .LBB0_454
.LBB0_537:                              ;   in Loop: Header=BB0_142 Depth=1
	s_branch .LBB0_566
.LBB0_538:                              ;   in Loop: Header=BB0_142 Depth=1
                                        ; implicit-def: $vgpr9_vgpr10
	s_cbranch_execz .LBB0_566
; %bb.539:                              ;   in Loop: Header=BB0_142 Depth=1
	v_readfirstlane_b32 s0, v31
	v_mov_b32_e32 v3, 0
	v_mov_b32_e32 v4, 0
	v_cmp_eq_u32_e64 s[0:1], s0, v31
	s_and_saveexec_b64 s[26:27], s[0:1]
	s_cbranch_execz .LBB0_545
; %bb.540:                              ;   in Loop: Header=BB0_142 Depth=1
	global_load_dwordx2 v[11:12], v2, s[2:3] offset:24 glc
	s_waitcnt vmcnt(0)
	buffer_wbinvl1_vol
	global_load_dwordx2 v[3:4], v2, s[2:3] offset:40
	global_load_dwordx2 v[9:10], v2, s[2:3]
	s_waitcnt vmcnt(1)
	v_and_b32_e32 v1, v3, v11
	v_and_b32_e32 v3, v4, v12
	v_mul_lo_u32 v3, v3, 24
	v_mul_hi_u32 v4, v1, 24
	v_mul_lo_u32 v1, v1, 24
	v_add_u32_e32 v4, v4, v3
	s_waitcnt vmcnt(0)
	v_add_co_u32_e32 v3, vcc, v9, v1
	v_addc_co_u32_e32 v4, vcc, v10, v4, vcc
	global_load_dwordx2 v[9:10], v[3:4], off glc
	s_waitcnt vmcnt(0)
	global_atomic_cmpswap_x2 v[3:4], v2, v[9:12], s[2:3] offset:24 glc
	s_waitcnt vmcnt(0)
	buffer_wbinvl1_vol
	v_cmp_ne_u64_e32 vcc, v[3:4], v[11:12]
	s_and_saveexec_b64 s[28:29], vcc
	s_cbranch_execz .LBB0_544
; %bb.541:                              ;   in Loop: Header=BB0_142 Depth=1
	s_mov_b64 s[30:31], 0
.LBB0_542:                              ;   Parent Loop BB0_142 Depth=1
                                        ; =>  This Inner Loop Header: Depth=2
	s_sleep 1
	global_load_dwordx2 v[9:10], v2, s[2:3] offset:40
	global_load_dwordx2 v[13:14], v2, s[2:3]
	v_mov_b32_e32 v12, v4
	v_mov_b32_e32 v11, v3
	s_waitcnt vmcnt(1)
	v_and_b32_e32 v1, v9, v11
	s_waitcnt vmcnt(0)
	v_mad_u64_u32 v[3:4], s[34:35], v1, 24, v[13:14]
	v_and_b32_e32 v9, v10, v12
	v_mov_b32_e32 v1, v4
	v_mad_u64_u32 v[9:10], s[34:35], v9, 24, v[1:2]
	v_mov_b32_e32 v4, v9
	global_load_dwordx2 v[9:10], v[3:4], off glc
	s_waitcnt vmcnt(0)
	global_atomic_cmpswap_x2 v[3:4], v2, v[9:12], s[2:3] offset:24 glc
	s_waitcnt vmcnt(0)
	buffer_wbinvl1_vol
	v_cmp_eq_u64_e32 vcc, v[3:4], v[11:12]
	s_or_b64 s[30:31], vcc, s[30:31]
	s_andn2_b64 exec, exec, s[30:31]
	s_cbranch_execnz .LBB0_542
; %bb.543:                              ;   in Loop: Header=BB0_142 Depth=1
	s_or_b64 exec, exec, s[30:31]
.LBB0_544:                              ;   in Loop: Header=BB0_142 Depth=1
	s_or_b64 exec, exec, s[28:29]
.LBB0_545:                              ;   in Loop: Header=BB0_142 Depth=1
	s_or_b64 exec, exec, s[26:27]
	global_load_dwordx2 v[9:10], v2, s[2:3] offset:40
	global_load_dwordx4 v[11:14], v2, s[2:3]
	v_readfirstlane_b32 s27, v4
	v_readfirstlane_b32 s26, v3
	s_mov_b64 s[28:29], exec
	s_waitcnt vmcnt(1)
	v_readfirstlane_b32 s30, v9
	v_readfirstlane_b32 s31, v10
	s_and_b64 s[30:31], s[30:31], s[26:27]
	s_mul_i32 s34, s31, 24
	s_mul_hi_u32 s35, s30, 24
	s_mul_i32 s36, s30, 24
	s_add_i32 s34, s35, s34
	v_mov_b32_e32 v1, s34
	s_waitcnt vmcnt(0)
	v_add_co_u32_e32 v15, vcc, s36, v11
	v_addc_co_u32_e32 v16, vcc, v12, v1, vcc
	s_and_saveexec_b64 s[34:35], s[0:1]
	s_cbranch_execz .LBB0_547
; %bb.546:                              ;   in Loop: Header=BB0_142 Depth=1
	v_mov_b32_e32 v3, s28
	v_mov_b32_e32 v4, s29
	global_store_dwordx4 v[15:16], v[3:6], off offset:8
.LBB0_547:                              ;   in Loop: Header=BB0_142 Depth=1
	s_or_b64 exec, exec, s[34:35]
	s_lshl_b64 s[28:29], s[30:31], 12
	v_mov_b32_e32 v1, s29
	v_add_co_u32_e32 v13, vcc, s28, v13
	v_addc_co_u32_e32 v14, vcc, v14, v1, vcc
	v_and_or_b32 v7, v7, s8, 32
	v_mov_b32_e32 v9, v2
	v_mov_b32_e32 v10, v2
	v_readfirstlane_b32 s28, v13
	v_readfirstlane_b32 s29, v14
	s_nop 4
	global_store_dwordx4 v32, v[7:10], s[28:29]
	s_nop 0
	v_mov_b32_e32 v10, s7
	v_mov_b32_e32 v9, s6
	;; [unrolled: 1-line block ×4, first 2 shown]
	global_store_dwordx4 v32, v[7:10], s[28:29] offset:16
	global_store_dwordx4 v32, v[7:10], s[28:29] offset:32
	;; [unrolled: 1-line block ×3, first 2 shown]
	s_and_saveexec_b64 s[28:29], s[0:1]
	s_cbranch_execz .LBB0_555
; %bb.548:                              ;   in Loop: Header=BB0_142 Depth=1
	global_load_dwordx2 v[19:20], v2, s[2:3] offset:32 glc
	global_load_dwordx2 v[3:4], v2, s[2:3] offset:40
	v_mov_b32_e32 v17, s26
	v_mov_b32_e32 v18, s27
	s_waitcnt vmcnt(0)
	v_readfirstlane_b32 s30, v3
	v_readfirstlane_b32 s31, v4
	s_and_b64 s[30:31], s[30:31], s[26:27]
	s_mul_i32 s31, s31, 24
	s_mul_hi_u32 s34, s30, 24
	s_mul_i32 s30, s30, 24
	s_add_i32 s31, s34, s31
	v_mov_b32_e32 v1, s31
	v_add_co_u32_e32 v3, vcc, s30, v11
	v_addc_co_u32_e32 v4, vcc, v12, v1, vcc
	global_store_dwordx2 v[3:4], v[19:20], off
	s_waitcnt vmcnt(0)
	global_atomic_cmpswap_x2 v[9:10], v2, v[17:20], s[2:3] offset:32 glc
	s_waitcnt vmcnt(0)
	v_cmp_ne_u64_e32 vcc, v[9:10], v[19:20]
	s_and_saveexec_b64 s[30:31], vcc
	s_cbranch_execz .LBB0_551
; %bb.549:                              ;   in Loop: Header=BB0_142 Depth=1
	s_mov_b64 s[34:35], 0
.LBB0_550:                              ;   Parent Loop BB0_142 Depth=1
                                        ; =>  This Inner Loop Header: Depth=2
	s_sleep 1
	global_store_dwordx2 v[3:4], v[9:10], off
	v_mov_b32_e32 v7, s26
	v_mov_b32_e32 v8, s27
	s_waitcnt vmcnt(0)
	global_atomic_cmpswap_x2 v[7:8], v2, v[7:10], s[2:3] offset:32 glc
	s_waitcnt vmcnt(0)
	v_cmp_eq_u64_e32 vcc, v[7:8], v[9:10]
	v_mov_b32_e32 v10, v8
	s_or_b64 s[34:35], vcc, s[34:35]
	v_mov_b32_e32 v9, v7
	s_andn2_b64 exec, exec, s[34:35]
	s_cbranch_execnz .LBB0_550
.LBB0_551:                              ;   in Loop: Header=BB0_142 Depth=1
	s_or_b64 exec, exec, s[30:31]
	global_load_dwordx2 v[3:4], v2, s[2:3] offset:16
	s_mov_b64 s[34:35], exec
	v_mbcnt_lo_u32_b32 v1, s34, 0
	v_mbcnt_hi_u32_b32 v1, s35, v1
	v_cmp_eq_u32_e32 vcc, 0, v1
	s_and_saveexec_b64 s[30:31], vcc
	s_cbranch_execz .LBB0_553
; %bb.552:                              ;   in Loop: Header=BB0_142 Depth=1
	s_bcnt1_i32_b64 s34, s[34:35]
	v_mov_b32_e32 v1, s34
	s_waitcnt vmcnt(0)
	global_atomic_add_x2 v[3:4], v[1:2], off offset:8
.LBB0_553:                              ;   in Loop: Header=BB0_142 Depth=1
	s_or_b64 exec, exec, s[30:31]
	s_waitcnt vmcnt(0)
	global_load_dwordx2 v[7:8], v[3:4], off offset:16
	s_waitcnt vmcnt(0)
	v_cmp_eq_u64_e32 vcc, 0, v[7:8]
	s_cbranch_vccnz .LBB0_555
; %bb.554:                              ;   in Loop: Header=BB0_142 Depth=1
	global_load_dword v1, v[3:4], off offset:24
	s_waitcnt vmcnt(0)
	v_readfirstlane_b32 s30, v1
	s_and_b32 m0, s30, 0xffffff
	global_store_dwordx2 v[7:8], v[1:2], off
	s_sendmsg sendmsg(MSG_INTERRUPT)
.LBB0_555:                              ;   in Loop: Header=BB0_142 Depth=1
	s_or_b64 exec, exec, s[28:29]
	v_add_co_u32_e32 v3, vcc, v13, v32
	v_addc_co_u32_e32 v4, vcc, 0, v14, vcc
	s_branch .LBB0_559
.LBB0_556:                              ;   in Loop: Header=BB0_559 Depth=2
	s_or_b64 exec, exec, s[28:29]
	v_readfirstlane_b32 s28, v1
	s_cmp_eq_u32 s28, 0
	s_cbranch_scc1 .LBB0_558
; %bb.557:                              ;   in Loop: Header=BB0_559 Depth=2
	s_sleep 1
	s_cbranch_execnz .LBB0_559
	s_branch .LBB0_561
.LBB0_558:                              ;   in Loop: Header=BB0_142 Depth=1
	s_branch .LBB0_561
.LBB0_559:                              ;   Parent Loop BB0_142 Depth=1
                                        ; =>  This Inner Loop Header: Depth=2
	v_mov_b32_e32 v1, 1
	s_and_saveexec_b64 s[28:29], s[0:1]
	s_cbranch_execz .LBB0_556
; %bb.560:                              ;   in Loop: Header=BB0_559 Depth=2
	global_load_dword v1, v[15:16], off offset:20 glc
	s_waitcnt vmcnt(0)
	buffer_wbinvl1_vol
	v_and_b32_e32 v1, 1, v1
	s_branch .LBB0_556
.LBB0_561:                              ;   in Loop: Header=BB0_142 Depth=1
	global_load_dwordx2 v[9:10], v[3:4], off
	s_and_saveexec_b64 s[28:29], s[0:1]
	s_cbranch_execz .LBB0_565
; %bb.562:                              ;   in Loop: Header=BB0_142 Depth=1
	global_load_dwordx2 v[3:4], v2, s[2:3] offset:40
	global_load_dwordx2 v[15:16], v2, s[2:3] offset:24 glc
	global_load_dwordx2 v[7:8], v2, s[2:3]
	s_waitcnt vmcnt(2)
	v_readfirstlane_b32 s30, v3
	v_readfirstlane_b32 s31, v4
	s_add_u32 s34, s30, 1
	s_addc_u32 s35, s31, 0
	s_add_u32 s0, s34, s26
	s_addc_u32 s1, s35, s27
	s_cmp_eq_u64 s[0:1], 0
	s_cselect_b32 s1, s35, s1
	s_cselect_b32 s0, s34, s0
	s_and_b64 s[26:27], s[0:1], s[30:31]
	s_mul_i32 s27, s27, 24
	s_mul_hi_u32 s30, s26, 24
	s_mul_i32 s26, s26, 24
	s_add_i32 s27, s30, s27
	v_mov_b32_e32 v1, s27
	s_waitcnt vmcnt(0)
	v_add_co_u32_e32 v3, vcc, s26, v7
	v_addc_co_u32_e32 v4, vcc, v8, v1, vcc
	v_mov_b32_e32 v13, s0
	global_store_dwordx2 v[3:4], v[15:16], off
	v_mov_b32_e32 v14, s1
	s_waitcnt vmcnt(0)
	global_atomic_cmpswap_x2 v[13:14], v2, v[13:16], s[2:3] offset:24 glc
	s_waitcnt vmcnt(0)
	v_cmp_ne_u64_e32 vcc, v[13:14], v[15:16]
	s_and_b64 exec, exec, vcc
	s_cbranch_execz .LBB0_565
; %bb.563:                              ;   in Loop: Header=BB0_142 Depth=1
	s_mov_b64 s[26:27], 0
.LBB0_564:                              ;   Parent Loop BB0_142 Depth=1
                                        ; =>  This Inner Loop Header: Depth=2
	s_sleep 1
	global_store_dwordx2 v[3:4], v[13:14], off
	v_mov_b32_e32 v11, s0
	v_mov_b32_e32 v12, s1
	s_waitcnt vmcnt(0)
	global_atomic_cmpswap_x2 v[7:8], v2, v[11:14], s[2:3] offset:24 glc
	s_waitcnt vmcnt(0)
	v_cmp_eq_u64_e32 vcc, v[7:8], v[13:14]
	v_mov_b32_e32 v14, v8
	s_or_b64 s[26:27], vcc, s[26:27]
	v_mov_b32_e32 v13, v7
	s_andn2_b64 exec, exec, s[26:27]
	s_cbranch_execnz .LBB0_564
.LBB0_565:                              ;   in Loop: Header=BB0_142 Depth=1
	s_or_b64 exec, exec, s[28:29]
.LBB0_566:                              ;   in Loop: Header=BB0_142 Depth=1
	v_readfirstlane_b32 s0, v31
	v_mov_b32_e32 v3, 0
	v_mov_b32_e32 v4, 0
	v_cmp_eq_u32_e64 s[0:1], s0, v31
	s_and_saveexec_b64 s[26:27], s[0:1]
	s_cbranch_execz .LBB0_572
; %bb.567:                              ;   in Loop: Header=BB0_142 Depth=1
	global_load_dwordx2 v[13:14], v2, s[2:3] offset:24 glc
	s_waitcnt vmcnt(0)
	buffer_wbinvl1_vol
	global_load_dwordx2 v[3:4], v2, s[2:3] offset:40
	global_load_dwordx2 v[7:8], v2, s[2:3]
	s_waitcnt vmcnt(1)
	v_and_b32_e32 v1, v3, v13
	v_and_b32_e32 v3, v4, v14
	v_mul_lo_u32 v3, v3, 24
	v_mul_hi_u32 v4, v1, 24
	v_mul_lo_u32 v1, v1, 24
	v_add_u32_e32 v4, v4, v3
	s_waitcnt vmcnt(0)
	v_add_co_u32_e32 v3, vcc, v7, v1
	v_addc_co_u32_e32 v4, vcc, v8, v4, vcc
	global_load_dwordx2 v[11:12], v[3:4], off glc
	s_waitcnt vmcnt(0)
	global_atomic_cmpswap_x2 v[3:4], v2, v[11:14], s[2:3] offset:24 glc
	s_waitcnt vmcnt(0)
	buffer_wbinvl1_vol
	v_cmp_ne_u64_e32 vcc, v[3:4], v[13:14]
	s_and_saveexec_b64 s[28:29], vcc
	s_cbranch_execz .LBB0_571
; %bb.568:                              ;   in Loop: Header=BB0_142 Depth=1
	s_mov_b64 s[30:31], 0
.LBB0_569:                              ;   Parent Loop BB0_142 Depth=1
                                        ; =>  This Inner Loop Header: Depth=2
	s_sleep 1
	global_load_dwordx2 v[7:8], v2, s[2:3] offset:40
	global_load_dwordx2 v[11:12], v2, s[2:3]
	v_mov_b32_e32 v14, v4
	v_mov_b32_e32 v13, v3
	s_waitcnt vmcnt(1)
	v_and_b32_e32 v1, v7, v13
	s_waitcnt vmcnt(0)
	v_mad_u64_u32 v[3:4], s[34:35], v1, 24, v[11:12]
	v_and_b32_e32 v7, v8, v14
	v_mov_b32_e32 v1, v4
	v_mad_u64_u32 v[7:8], s[34:35], v7, 24, v[1:2]
	v_mov_b32_e32 v4, v7
	global_load_dwordx2 v[11:12], v[3:4], off glc
	s_waitcnt vmcnt(0)
	global_atomic_cmpswap_x2 v[3:4], v2, v[11:14], s[2:3] offset:24 glc
	s_waitcnt vmcnt(0)
	buffer_wbinvl1_vol
	v_cmp_eq_u64_e32 vcc, v[3:4], v[13:14]
	s_or_b64 s[30:31], vcc, s[30:31]
	s_andn2_b64 exec, exec, s[30:31]
	s_cbranch_execnz .LBB0_569
; %bb.570:                              ;   in Loop: Header=BB0_142 Depth=1
	s_or_b64 exec, exec, s[30:31]
.LBB0_571:                              ;   in Loop: Header=BB0_142 Depth=1
	s_or_b64 exec, exec, s[28:29]
.LBB0_572:                              ;   in Loop: Header=BB0_142 Depth=1
	s_or_b64 exec, exec, s[26:27]
	global_load_dwordx2 v[7:8], v2, s[2:3] offset:40
	global_load_dwordx4 v[13:16], v2, s[2:3]
	v_readfirstlane_b32 s27, v4
	v_readfirstlane_b32 s26, v3
	s_mov_b64 s[28:29], exec
	s_waitcnt vmcnt(1)
	v_readfirstlane_b32 s30, v7
	v_readfirstlane_b32 s31, v8
	s_and_b64 s[30:31], s[30:31], s[26:27]
	s_mul_i32 s34, s31, 24
	s_mul_hi_u32 s35, s30, 24
	s_mul_i32 s36, s30, 24
	s_add_i32 s34, s35, s34
	v_mov_b32_e32 v1, s34
	s_waitcnt vmcnt(0)
	v_add_co_u32_e32 v17, vcc, s36, v13
	v_addc_co_u32_e32 v18, vcc, v14, v1, vcc
	s_and_saveexec_b64 s[34:35], s[0:1]
	s_cbranch_execz .LBB0_574
; %bb.573:                              ;   in Loop: Header=BB0_142 Depth=1
	v_mov_b32_e32 v3, s28
	v_mov_b32_e32 v4, s29
	global_store_dwordx4 v[17:18], v[3:6], off offset:8
.LBB0_574:                              ;   in Loop: Header=BB0_142 Depth=1
	s_or_b64 exec, exec, s[34:35]
	s_lshl_b64 s[28:29], s[30:31], 12
	v_mov_b32_e32 v1, s29
	v_add_co_u32_e32 v3, vcc, s28, v15
	v_addc_co_u32_e32 v1, vcc, v16, v1, vcc
	s_ashr_i32 s28, s33, 1
	v_and_or_b32 v9, v9, s11, 34
	v_mov_b32_e32 v11, s28
	v_mov_b32_e32 v12, v2
	v_readfirstlane_b32 s28, v3
	v_readfirstlane_b32 s29, v1
	s_nop 4
	global_store_dwordx4 v32, v[9:12], s[28:29]
	s_nop 0
	v_mov_b32_e32 v10, s7
	v_mov_b32_e32 v9, s6
	;; [unrolled: 1-line block ×4, first 2 shown]
	global_store_dwordx4 v32, v[7:10], s[28:29] offset:16
	global_store_dwordx4 v32, v[7:10], s[28:29] offset:32
	global_store_dwordx4 v32, v[7:10], s[28:29] offset:48
	s_and_saveexec_b64 s[28:29], s[0:1]
	s_cbranch_execz .LBB0_582
; %bb.575:                              ;   in Loop: Header=BB0_142 Depth=1
	global_load_dwordx2 v[11:12], v2, s[2:3] offset:32 glc
	global_load_dwordx2 v[3:4], v2, s[2:3] offset:40
	v_mov_b32_e32 v9, s26
	v_mov_b32_e32 v10, s27
	s_waitcnt vmcnt(0)
	v_readfirstlane_b32 s30, v3
	v_readfirstlane_b32 s31, v4
	s_and_b64 s[30:31], s[30:31], s[26:27]
	s_mul_i32 s31, s31, 24
	s_mul_hi_u32 s33, s30, 24
	s_mul_i32 s30, s30, 24
	s_add_i32 s31, s33, s31
	v_mov_b32_e32 v1, s31
	v_add_co_u32_e32 v3, vcc, s30, v13
	v_addc_co_u32_e32 v4, vcc, v14, v1, vcc
	global_store_dwordx2 v[3:4], v[11:12], off
	s_waitcnt vmcnt(0)
	global_atomic_cmpswap_x2 v[9:10], v2, v[9:12], s[2:3] offset:32 glc
	s_waitcnt vmcnt(0)
	v_cmp_ne_u64_e32 vcc, v[9:10], v[11:12]
	s_and_saveexec_b64 s[30:31], vcc
	s_cbranch_execz .LBB0_578
; %bb.576:                              ;   in Loop: Header=BB0_142 Depth=1
	s_mov_b64 s[34:35], 0
.LBB0_577:                              ;   Parent Loop BB0_142 Depth=1
                                        ; =>  This Inner Loop Header: Depth=2
	s_sleep 1
	global_store_dwordx2 v[3:4], v[9:10], off
	v_mov_b32_e32 v7, s26
	v_mov_b32_e32 v8, s27
	s_waitcnt vmcnt(0)
	global_atomic_cmpswap_x2 v[7:8], v2, v[7:10], s[2:3] offset:32 glc
	s_waitcnt vmcnt(0)
	v_cmp_eq_u64_e32 vcc, v[7:8], v[9:10]
	v_mov_b32_e32 v10, v8
	s_or_b64 s[34:35], vcc, s[34:35]
	v_mov_b32_e32 v9, v7
	s_andn2_b64 exec, exec, s[34:35]
	s_cbranch_execnz .LBB0_577
.LBB0_578:                              ;   in Loop: Header=BB0_142 Depth=1
	s_or_b64 exec, exec, s[30:31]
	global_load_dwordx2 v[3:4], v2, s[2:3] offset:16
	s_mov_b64 s[34:35], exec
	v_mbcnt_lo_u32_b32 v1, s34, 0
	v_mbcnt_hi_u32_b32 v1, s35, v1
	v_cmp_eq_u32_e32 vcc, 0, v1
	s_and_saveexec_b64 s[30:31], vcc
	s_cbranch_execz .LBB0_580
; %bb.579:                              ;   in Loop: Header=BB0_142 Depth=1
	s_bcnt1_i32_b64 s33, s[34:35]
	v_mov_b32_e32 v1, s33
	s_waitcnt vmcnt(0)
	global_atomic_add_x2 v[3:4], v[1:2], off offset:8
.LBB0_580:                              ;   in Loop: Header=BB0_142 Depth=1
	s_or_b64 exec, exec, s[30:31]
	s_waitcnt vmcnt(0)
	global_load_dwordx2 v[7:8], v[3:4], off offset:16
	s_waitcnt vmcnt(0)
	v_cmp_eq_u64_e32 vcc, 0, v[7:8]
	s_cbranch_vccnz .LBB0_582
; %bb.581:                              ;   in Loop: Header=BB0_142 Depth=1
	global_load_dword v1, v[3:4], off offset:24
	s_waitcnt vmcnt(0)
	v_readfirstlane_b32 s30, v1
	s_and_b32 m0, s30, 0xffffff
	global_store_dwordx2 v[7:8], v[1:2], off
	s_sendmsg sendmsg(MSG_INTERRUPT)
.LBB0_582:                              ;   in Loop: Header=BB0_142 Depth=1
	s_or_b64 exec, exec, s[28:29]
	s_branch .LBB0_586
.LBB0_583:                              ;   in Loop: Header=BB0_586 Depth=2
	s_or_b64 exec, exec, s[28:29]
	v_readfirstlane_b32 s28, v1
	s_cmp_eq_u32 s28, 0
	s_cbranch_scc1 .LBB0_585
; %bb.584:                              ;   in Loop: Header=BB0_586 Depth=2
	s_sleep 1
	s_cbranch_execnz .LBB0_586
	s_branch .LBB0_588
.LBB0_585:                              ;   in Loop: Header=BB0_142 Depth=1
	s_branch .LBB0_588
.LBB0_586:                              ;   Parent Loop BB0_142 Depth=1
                                        ; =>  This Inner Loop Header: Depth=2
	v_mov_b32_e32 v1, 1
	s_and_saveexec_b64 s[28:29], s[0:1]
	s_cbranch_execz .LBB0_583
; %bb.587:                              ;   in Loop: Header=BB0_586 Depth=2
	global_load_dword v1, v[17:18], off offset:20 glc
	s_waitcnt vmcnt(0)
	buffer_wbinvl1_vol
	v_and_b32_e32 v1, 1, v1
	s_branch .LBB0_583
.LBB0_588:                              ;   in Loop: Header=BB0_142 Depth=1
	s_and_saveexec_b64 s[28:29], s[0:1]
	s_cbranch_execz .LBB0_592
; %bb.589:                              ;   in Loop: Header=BB0_142 Depth=1
	global_load_dwordx2 v[3:4], v2, s[2:3] offset:40
	global_load_dwordx2 v[11:12], v2, s[2:3] offset:24 glc
	global_load_dwordx2 v[7:8], v2, s[2:3]
	s_waitcnt vmcnt(2)
	v_readfirstlane_b32 s30, v3
	v_readfirstlane_b32 s31, v4
	s_add_u32 s33, s30, 1
	s_addc_u32 s34, s31, 0
	s_add_u32 s0, s33, s26
	s_addc_u32 s1, s34, s27
	s_cmp_eq_u64 s[0:1], 0
	s_cselect_b32 s1, s34, s1
	s_cselect_b32 s0, s33, s0
	s_and_b64 s[26:27], s[0:1], s[30:31]
	s_mul_i32 s27, s27, 24
	s_mul_hi_u32 s30, s26, 24
	s_mul_i32 s26, s26, 24
	s_add_i32 s27, s30, s27
	v_mov_b32_e32 v1, s27
	s_waitcnt vmcnt(0)
	v_add_co_u32_e32 v3, vcc, s26, v7
	v_addc_co_u32_e32 v4, vcc, v8, v1, vcc
	v_mov_b32_e32 v9, s0
	global_store_dwordx2 v[3:4], v[11:12], off
	v_mov_b32_e32 v10, s1
	s_waitcnt vmcnt(0)
	global_atomic_cmpswap_x2 v[9:10], v2, v[9:12], s[2:3] offset:24 glc
	s_waitcnt vmcnt(0)
	v_cmp_ne_u64_e32 vcc, v[9:10], v[11:12]
	s_and_b64 exec, exec, vcc
	s_cbranch_execz .LBB0_592
; %bb.590:                              ;   in Loop: Header=BB0_142 Depth=1
	s_mov_b64 s[26:27], 0
.LBB0_591:                              ;   Parent Loop BB0_142 Depth=1
                                        ; =>  This Inner Loop Header: Depth=2
	s_sleep 1
	global_store_dwordx2 v[3:4], v[9:10], off
	v_mov_b32_e32 v7, s0
	v_mov_b32_e32 v8, s1
	s_waitcnt vmcnt(0)
	global_atomic_cmpswap_x2 v[7:8], v2, v[7:10], s[2:3] offset:24 glc
	s_waitcnt vmcnt(0)
	v_cmp_eq_u64_e32 vcc, v[7:8], v[9:10]
	v_mov_b32_e32 v10, v8
	s_or_b64 s[26:27], vcc, s[26:27]
	v_mov_b32_e32 v9, v7
	s_andn2_b64 exec, exec, s[26:27]
	s_cbranch_execnz .LBB0_591
.LBB0_592:                              ;   in Loop: Header=BB0_142 Depth=1
	s_or_b64 exec, exec, s[28:29]
	v_readfirstlane_b32 s0, v31
	v_mov_b32_e32 v3, 0
	v_mov_b32_e32 v4, 0
	v_cmp_eq_u32_e64 s[0:1], s0, v31
	s_and_saveexec_b64 s[26:27], s[0:1]
	s_cbranch_execz .LBB0_598
; %bb.593:                              ;   in Loop: Header=BB0_142 Depth=1
	global_load_dwordx2 v[9:10], v2, s[2:3] offset:24 glc
	s_waitcnt vmcnt(0)
	buffer_wbinvl1_vol
	global_load_dwordx2 v[3:4], v2, s[2:3] offset:40
	global_load_dwordx2 v[7:8], v2, s[2:3]
	s_waitcnt vmcnt(1)
	v_and_b32_e32 v1, v3, v9
	v_and_b32_e32 v3, v4, v10
	v_mul_lo_u32 v3, v3, 24
	v_mul_hi_u32 v4, v1, 24
	v_mul_lo_u32 v1, v1, 24
	v_add_u32_e32 v4, v4, v3
	s_waitcnt vmcnt(0)
	v_add_co_u32_e32 v3, vcc, v7, v1
	v_addc_co_u32_e32 v4, vcc, v8, v4, vcc
	global_load_dwordx2 v[7:8], v[3:4], off glc
	s_waitcnt vmcnt(0)
	global_atomic_cmpswap_x2 v[3:4], v2, v[7:10], s[2:3] offset:24 glc
	s_waitcnt vmcnt(0)
	buffer_wbinvl1_vol
	v_cmp_ne_u64_e32 vcc, v[3:4], v[9:10]
	s_and_saveexec_b64 s[28:29], vcc
	s_cbranch_execz .LBB0_597
; %bb.594:                              ;   in Loop: Header=BB0_142 Depth=1
	s_mov_b64 s[30:31], 0
.LBB0_595:                              ;   Parent Loop BB0_142 Depth=1
                                        ; =>  This Inner Loop Header: Depth=2
	s_sleep 1
	global_load_dwordx2 v[7:8], v2, s[2:3] offset:40
	global_load_dwordx2 v[11:12], v2, s[2:3]
	v_mov_b32_e32 v10, v4
	v_mov_b32_e32 v9, v3
	s_waitcnt vmcnt(1)
	v_and_b32_e32 v1, v7, v9
	s_waitcnt vmcnt(0)
	v_mad_u64_u32 v[3:4], s[34:35], v1, 24, v[11:12]
	v_and_b32_e32 v7, v8, v10
	v_mov_b32_e32 v1, v4
	v_mad_u64_u32 v[7:8], s[34:35], v7, 24, v[1:2]
	v_mov_b32_e32 v4, v7
	global_load_dwordx2 v[7:8], v[3:4], off glc
	s_waitcnt vmcnt(0)
	global_atomic_cmpswap_x2 v[3:4], v2, v[7:10], s[2:3] offset:24 glc
	s_waitcnt vmcnt(0)
	buffer_wbinvl1_vol
	v_cmp_eq_u64_e32 vcc, v[3:4], v[9:10]
	s_or_b64 s[30:31], vcc, s[30:31]
	s_andn2_b64 exec, exec, s[30:31]
	s_cbranch_execnz .LBB0_595
; %bb.596:                              ;   in Loop: Header=BB0_142 Depth=1
	s_or_b64 exec, exec, s[30:31]
.LBB0_597:                              ;   in Loop: Header=BB0_142 Depth=1
	s_or_b64 exec, exec, s[28:29]
.LBB0_598:                              ;   in Loop: Header=BB0_142 Depth=1
	s_or_b64 exec, exec, s[26:27]
	global_load_dwordx2 v[11:12], v2, s[2:3] offset:40
	global_load_dwordx4 v[7:10], v2, s[2:3]
	v_readfirstlane_b32 s27, v4
	v_readfirstlane_b32 s26, v3
	s_mov_b64 s[28:29], exec
	s_waitcnt vmcnt(1)
	v_readfirstlane_b32 s30, v11
	v_readfirstlane_b32 s31, v12
	s_and_b64 s[30:31], s[30:31], s[26:27]
	s_mul_i32 s33, s31, 24
	s_mul_hi_u32 s34, s30, 24
	s_mul_i32 s35, s30, 24
	s_add_i32 s33, s34, s33
	v_mov_b32_e32 v1, s33
	s_waitcnt vmcnt(0)
	v_add_co_u32_e32 v11, vcc, s35, v7
	v_addc_co_u32_e32 v12, vcc, v8, v1, vcc
	s_and_saveexec_b64 s[34:35], s[0:1]
	s_cbranch_execz .LBB0_600
; %bb.599:                              ;   in Loop: Header=BB0_142 Depth=1
	v_mov_b32_e32 v3, s28
	v_mov_b32_e32 v4, s29
	global_store_dwordx4 v[11:12], v[3:6], off offset:8
.LBB0_600:                              ;   in Loop: Header=BB0_142 Depth=1
	s_or_b64 exec, exec, s[34:35]
	s_lshl_b64 s[28:29], s[30:31], 12
	v_mov_b32_e32 v1, s29
	v_add_co_u32_e32 v13, vcc, s28, v9
	v_addc_co_u32_e32 v14, vcc, v10, v1, vcc
	v_mov_b32_e32 v18, s7
	v_mov_b32_e32 v1, v2
	;; [unrolled: 1-line block ×3, first 2 shown]
	v_readfirstlane_b32 s28, v13
	v_readfirstlane_b32 s29, v14
	v_mov_b32_e32 v17, s6
	v_mov_b32_e32 v16, s5
	v_mov_b32_e32 v15, s4
	s_nop 1
	global_store_dwordx4 v32, v[0:3], s[28:29]
	global_store_dwordx4 v32, v[15:18], s[28:29] offset:16
	global_store_dwordx4 v32, v[15:18], s[28:29] offset:32
	;; [unrolled: 1-line block ×3, first 2 shown]
	s_and_saveexec_b64 s[28:29], s[0:1]
	s_cbranch_execz .LBB0_608
; %bb.601:                              ;   in Loop: Header=BB0_142 Depth=1
	global_load_dwordx2 v[17:18], v2, s[2:3] offset:32 glc
	global_load_dwordx2 v[3:4], v2, s[2:3] offset:40
	v_mov_b32_e32 v15, s26
	v_mov_b32_e32 v16, s27
	s_waitcnt vmcnt(0)
	v_readfirstlane_b32 s30, v3
	v_readfirstlane_b32 s31, v4
	s_and_b64 s[30:31], s[30:31], s[26:27]
	s_mul_i32 s31, s31, 24
	s_mul_hi_u32 s33, s30, 24
	s_mul_i32 s30, s30, 24
	s_add_i32 s31, s33, s31
	v_mov_b32_e32 v1, s31
	v_add_co_u32_e32 v3, vcc, s30, v7
	v_addc_co_u32_e32 v4, vcc, v8, v1, vcc
	global_store_dwordx2 v[3:4], v[17:18], off
	s_waitcnt vmcnt(0)
	global_atomic_cmpswap_x2 v[9:10], v2, v[15:18], s[2:3] offset:32 glc
	s_waitcnt vmcnt(0)
	v_cmp_ne_u64_e32 vcc, v[9:10], v[17:18]
	s_and_saveexec_b64 s[30:31], vcc
	s_cbranch_execz .LBB0_604
; %bb.602:                              ;   in Loop: Header=BB0_142 Depth=1
	s_mov_b64 s[34:35], 0
.LBB0_603:                              ;   Parent Loop BB0_142 Depth=1
                                        ; =>  This Inner Loop Header: Depth=2
	s_sleep 1
	global_store_dwordx2 v[3:4], v[9:10], off
	v_mov_b32_e32 v7, s26
	v_mov_b32_e32 v8, s27
	s_waitcnt vmcnt(0)
	global_atomic_cmpswap_x2 v[7:8], v2, v[7:10], s[2:3] offset:32 glc
	s_waitcnt vmcnt(0)
	v_cmp_eq_u64_e32 vcc, v[7:8], v[9:10]
	v_mov_b32_e32 v10, v8
	s_or_b64 s[34:35], vcc, s[34:35]
	v_mov_b32_e32 v9, v7
	s_andn2_b64 exec, exec, s[34:35]
	s_cbranch_execnz .LBB0_603
.LBB0_604:                              ;   in Loop: Header=BB0_142 Depth=1
	s_or_b64 exec, exec, s[30:31]
	global_load_dwordx2 v[3:4], v2, s[2:3] offset:16
	s_mov_b64 s[34:35], exec
	v_mbcnt_lo_u32_b32 v1, s34, 0
	v_mbcnt_hi_u32_b32 v1, s35, v1
	v_cmp_eq_u32_e32 vcc, 0, v1
	s_and_saveexec_b64 s[30:31], vcc
	s_cbranch_execz .LBB0_606
; %bb.605:                              ;   in Loop: Header=BB0_142 Depth=1
	s_bcnt1_i32_b64 s33, s[34:35]
	v_mov_b32_e32 v1, s33
	s_waitcnt vmcnt(0)
	global_atomic_add_x2 v[3:4], v[1:2], off offset:8
.LBB0_606:                              ;   in Loop: Header=BB0_142 Depth=1
	s_or_b64 exec, exec, s[30:31]
	s_waitcnt vmcnt(0)
	global_load_dwordx2 v[7:8], v[3:4], off offset:16
	s_waitcnt vmcnt(0)
	v_cmp_eq_u64_e32 vcc, 0, v[7:8]
	s_cbranch_vccnz .LBB0_608
; %bb.607:                              ;   in Loop: Header=BB0_142 Depth=1
	global_load_dword v1, v[3:4], off offset:24
	s_waitcnt vmcnt(0)
	v_readfirstlane_b32 s30, v1
	s_and_b32 m0, s30, 0xffffff
	global_store_dwordx2 v[7:8], v[1:2], off
	s_sendmsg sendmsg(MSG_INTERRUPT)
.LBB0_608:                              ;   in Loop: Header=BB0_142 Depth=1
	s_or_b64 exec, exec, s[28:29]
	v_add_co_u32_e32 v3, vcc, v13, v32
	v_addc_co_u32_e32 v4, vcc, 0, v14, vcc
	s_branch .LBB0_612
.LBB0_609:                              ;   in Loop: Header=BB0_612 Depth=2
	s_or_b64 exec, exec, s[28:29]
	v_readfirstlane_b32 s28, v1
	s_cmp_eq_u32 s28, 0
	s_cbranch_scc1 .LBB0_611
; %bb.610:                              ;   in Loop: Header=BB0_612 Depth=2
	s_sleep 1
	s_cbranch_execnz .LBB0_612
	s_branch .LBB0_614
.LBB0_611:                              ;   in Loop: Header=BB0_142 Depth=1
	s_branch .LBB0_614
.LBB0_612:                              ;   Parent Loop BB0_142 Depth=1
                                        ; =>  This Inner Loop Header: Depth=2
	v_mov_b32_e32 v1, 1
	s_and_saveexec_b64 s[28:29], s[0:1]
	s_cbranch_execz .LBB0_609
; %bb.613:                              ;   in Loop: Header=BB0_612 Depth=2
	global_load_dword v1, v[11:12], off offset:20 glc
	s_waitcnt vmcnt(0)
	buffer_wbinvl1_vol
	v_and_b32_e32 v1, 1, v1
	s_branch .LBB0_609
.LBB0_614:                              ;   in Loop: Header=BB0_142 Depth=1
	global_load_dwordx2 v[11:12], v[3:4], off
	s_and_saveexec_b64 s[28:29], s[0:1]
	s_cbranch_execz .LBB0_618
; %bb.615:                              ;   in Loop: Header=BB0_142 Depth=1
	global_load_dwordx2 v[3:4], v2, s[2:3] offset:40
	global_load_dwordx2 v[15:16], v2, s[2:3] offset:24 glc
	global_load_dwordx2 v[7:8], v2, s[2:3]
	s_waitcnt vmcnt(2)
	v_readfirstlane_b32 s30, v3
	v_readfirstlane_b32 s31, v4
	s_add_u32 s33, s30, 1
	s_addc_u32 s34, s31, 0
	s_add_u32 s0, s33, s26
	s_addc_u32 s1, s34, s27
	s_cmp_eq_u64 s[0:1], 0
	s_cselect_b32 s1, s34, s1
	s_cselect_b32 s0, s33, s0
	s_and_b64 s[26:27], s[0:1], s[30:31]
	s_mul_i32 s27, s27, 24
	s_mul_hi_u32 s30, s26, 24
	s_mul_i32 s26, s26, 24
	s_add_i32 s27, s30, s27
	v_mov_b32_e32 v1, s27
	s_waitcnt vmcnt(0)
	v_add_co_u32_e32 v3, vcc, s26, v7
	v_addc_co_u32_e32 v4, vcc, v8, v1, vcc
	v_mov_b32_e32 v13, s0
	global_store_dwordx2 v[3:4], v[15:16], off
	v_mov_b32_e32 v14, s1
	s_waitcnt vmcnt(0)
	global_atomic_cmpswap_x2 v[9:10], v2, v[13:16], s[2:3] offset:24 glc
	s_waitcnt vmcnt(0)
	v_cmp_ne_u64_e32 vcc, v[9:10], v[15:16]
	s_and_b64 exec, exec, vcc
	s_cbranch_execz .LBB0_618
; %bb.616:                              ;   in Loop: Header=BB0_142 Depth=1
	s_mov_b64 s[26:27], 0
.LBB0_617:                              ;   Parent Loop BB0_142 Depth=1
                                        ; =>  This Inner Loop Header: Depth=2
	s_sleep 1
	global_store_dwordx2 v[3:4], v[9:10], off
	v_mov_b32_e32 v7, s0
	v_mov_b32_e32 v8, s1
	s_waitcnt vmcnt(0)
	global_atomic_cmpswap_x2 v[7:8], v2, v[7:10], s[2:3] offset:24 glc
	s_waitcnt vmcnt(0)
	v_cmp_eq_u64_e32 vcc, v[7:8], v[9:10]
	v_mov_b32_e32 v10, v8
	s_or_b64 s[26:27], vcc, s[26:27]
	v_mov_b32_e32 v9, v7
	s_andn2_b64 exec, exec, s[26:27]
	s_cbranch_execnz .LBB0_617
.LBB0_618:                              ;   in Loop: Header=BB0_142 Depth=1
	s_or_b64 exec, exec, s[28:29]
	s_and_b64 vcc, exec, s[24:25]
	s_cbranch_vccz .LBB0_704
; %bb.619:                              ;   in Loop: Header=BB0_142 Depth=1
	s_waitcnt vmcnt(0)
	v_and_b32_e32 v7, -3, v11
	v_mov_b32_e32 v8, v12
	s_mov_b64 s[28:29], 6
	s_getpc_b64 s[26:27]
	s_add_u32 s26, s26, .str.5@rel32@lo+4
	s_addc_u32 s27, s27, .str.5@rel32@hi+12
	s_branch .LBB0_621
.LBB0_620:                              ;   in Loop: Header=BB0_621 Depth=2
	s_or_b64 exec, exec, s[36:37]
	s_sub_u32 s28, s28, s30
	s_subb_u32 s29, s29, s31
	s_add_u32 s26, s26, s30
	s_addc_u32 s27, s27, s31
	s_cmp_lg_u64 s[28:29], 0
	s_cbranch_scc0 .LBB0_703
.LBB0_621:                              ;   Parent Loop BB0_142 Depth=1
                                        ; =>  This Loop Header: Depth=2
                                        ;       Child Loop BB0_624 Depth 3
                                        ;       Child Loop BB0_632 Depth 3
	;; [unrolled: 1-line block ×11, first 2 shown]
	v_cmp_lt_u64_e64 s[0:1], s[28:29], 56
	v_cmp_gt_u64_e64 s[34:35], s[28:29], 7
	s_and_b64 s[0:1], s[0:1], exec
	s_cselect_b32 s31, s29, 0
	s_cselect_b32 s30, s28, 56
	s_add_u32 s0, s26, 8
	s_addc_u32 s1, s27, 0
	s_and_b64 vcc, exec, s[34:35]
	s_cbranch_vccnz .LBB0_625
; %bb.622:                              ;   in Loop: Header=BB0_621 Depth=2
	s_cmp_eq_u64 s[28:29], 0
	s_cbranch_scc1 .LBB0_626
; %bb.623:                              ;   in Loop: Header=BB0_621 Depth=2
	v_mov_b32_e32 v9, 0
	s_lshl_b64 s[0:1], s[30:31], 3
	s_mov_b64 s[34:35], 0
	v_mov_b32_e32 v10, 0
	s_mov_b64 s[36:37], s[26:27]
.LBB0_624:                              ;   Parent Loop BB0_142 Depth=1
                                        ;     Parent Loop BB0_621 Depth=2
                                        ; =>    This Inner Loop Header: Depth=3
	global_load_ubyte v1, v2, s[36:37]
	s_waitcnt vmcnt(0)
	v_and_b32_e32 v1, 0xffff, v1
	v_lshlrev_b64 v[3:4], s34, v[1:2]
	s_add_u32 s34, s34, 8
	s_addc_u32 s35, s35, 0
	s_add_u32 s36, s36, 1
	s_addc_u32 s37, s37, 0
	v_or_b32_e32 v9, v3, v9
	s_cmp_lg_u32 s0, s34
	v_or_b32_e32 v10, v4, v10
	s_cbranch_scc1 .LBB0_624
	s_branch .LBB0_627
.LBB0_625:                              ;   in Loop: Header=BB0_621 Depth=2
	s_mov_b32 s33, 0
	s_branch .LBB0_628
.LBB0_626:                              ;   in Loop: Header=BB0_621 Depth=2
	v_mov_b32_e32 v9, 0
	v_mov_b32_e32 v10, 0
.LBB0_627:                              ;   in Loop: Header=BB0_621 Depth=2
	s_mov_b64 s[0:1], s[26:27]
	s_mov_b32 s33, 0
	s_cbranch_execnz .LBB0_629
.LBB0_628:                              ;   in Loop: Header=BB0_621 Depth=2
	global_load_dwordx2 v[9:10], v2, s[26:27]
	s_add_i32 s33, s30, -8
.LBB0_629:                              ;   in Loop: Header=BB0_621 Depth=2
	s_add_u32 s34, s0, 8
	s_addc_u32 s35, s1, 0
	s_cmp_gt_u32 s33, 7
	s_cbranch_scc1 .LBB0_633
; %bb.630:                              ;   in Loop: Header=BB0_621 Depth=2
	s_cmp_eq_u32 s33, 0
	s_cbranch_scc1 .LBB0_634
; %bb.631:                              ;   in Loop: Header=BB0_621 Depth=2
	v_mov_b32_e32 v13, 0
	s_mov_b64 s[34:35], 0
	v_mov_b32_e32 v14, 0
	s_mov_b64 s[36:37], 0
.LBB0_632:                              ;   Parent Loop BB0_142 Depth=1
                                        ;     Parent Loop BB0_621 Depth=2
                                        ; =>    This Inner Loop Header: Depth=3
	s_add_u32 s38, s0, s36
	s_addc_u32 s39, s1, s37
	global_load_ubyte v1, v2, s[38:39]
	s_add_u32 s36, s36, 1
	s_addc_u32 s37, s37, 0
	s_waitcnt vmcnt(0)
	v_and_b32_e32 v1, 0xffff, v1
	v_lshlrev_b64 v[3:4], s34, v[1:2]
	s_add_u32 s34, s34, 8
	s_addc_u32 s35, s35, 0
	v_or_b32_e32 v13, v3, v13
	s_cmp_lg_u32 s33, s36
	v_or_b32_e32 v14, v4, v14
	s_cbranch_scc1 .LBB0_632
	s_branch .LBB0_635
.LBB0_633:                              ;   in Loop: Header=BB0_621 Depth=2
                                        ; implicit-def: $vgpr13_vgpr14
	s_mov_b32 s38, 0
	s_branch .LBB0_636
.LBB0_634:                              ;   in Loop: Header=BB0_621 Depth=2
	v_mov_b32_e32 v13, 0
	v_mov_b32_e32 v14, 0
.LBB0_635:                              ;   in Loop: Header=BB0_621 Depth=2
	s_mov_b64 s[34:35], s[0:1]
	s_mov_b32 s38, 0
	s_cbranch_execnz .LBB0_637
.LBB0_636:                              ;   in Loop: Header=BB0_621 Depth=2
	global_load_dwordx2 v[13:14], v2, s[0:1]
	s_add_i32 s38, s33, -8
.LBB0_637:                              ;   in Loop: Header=BB0_621 Depth=2
	s_add_u32 s0, s34, 8
	s_addc_u32 s1, s35, 0
	s_cmp_gt_u32 s38, 7
	s_cbranch_scc1 .LBB0_641
; %bb.638:                              ;   in Loop: Header=BB0_621 Depth=2
	s_cmp_eq_u32 s38, 0
	s_cbranch_scc1 .LBB0_642
; %bb.639:                              ;   in Loop: Header=BB0_621 Depth=2
	v_mov_b32_e32 v15, 0
	s_mov_b64 s[0:1], 0
	v_mov_b32_e32 v16, 0
	s_mov_b64 s[36:37], 0
.LBB0_640:                              ;   Parent Loop BB0_142 Depth=1
                                        ;     Parent Loop BB0_621 Depth=2
                                        ; =>    This Inner Loop Header: Depth=3
	s_add_u32 s40, s34, s36
	s_addc_u32 s41, s35, s37
	global_load_ubyte v1, v2, s[40:41]
	s_add_u32 s36, s36, 1
	s_addc_u32 s37, s37, 0
	s_waitcnt vmcnt(0)
	v_and_b32_e32 v1, 0xffff, v1
	v_lshlrev_b64 v[3:4], s0, v[1:2]
	s_add_u32 s0, s0, 8
	s_addc_u32 s1, s1, 0
	v_or_b32_e32 v15, v3, v15
	s_cmp_lg_u32 s38, s36
	v_or_b32_e32 v16, v4, v16
	s_cbranch_scc1 .LBB0_640
	s_branch .LBB0_643
.LBB0_641:                              ;   in Loop: Header=BB0_621 Depth=2
	s_mov_b32 s33, 0
	s_branch .LBB0_644
.LBB0_642:                              ;   in Loop: Header=BB0_621 Depth=2
	v_mov_b32_e32 v15, 0
	v_mov_b32_e32 v16, 0
.LBB0_643:                              ;   in Loop: Header=BB0_621 Depth=2
	s_mov_b64 s[0:1], s[34:35]
	s_mov_b32 s33, 0
	s_cbranch_execnz .LBB0_645
.LBB0_644:                              ;   in Loop: Header=BB0_621 Depth=2
	global_load_dwordx2 v[15:16], v2, s[34:35]
	s_add_i32 s33, s38, -8
.LBB0_645:                              ;   in Loop: Header=BB0_621 Depth=2
	s_add_u32 s34, s0, 8
	s_addc_u32 s35, s1, 0
	s_cmp_gt_u32 s33, 7
	s_cbranch_scc1 .LBB0_649
; %bb.646:                              ;   in Loop: Header=BB0_621 Depth=2
	s_cmp_eq_u32 s33, 0
	s_cbranch_scc1 .LBB0_650
; %bb.647:                              ;   in Loop: Header=BB0_621 Depth=2
	v_mov_b32_e32 v17, 0
	s_mov_b64 s[34:35], 0
	v_mov_b32_e32 v18, 0
	s_mov_b64 s[36:37], 0
.LBB0_648:                              ;   Parent Loop BB0_142 Depth=1
                                        ;     Parent Loop BB0_621 Depth=2
                                        ; =>    This Inner Loop Header: Depth=3
	s_add_u32 s38, s0, s36
	s_addc_u32 s39, s1, s37
	global_load_ubyte v1, v2, s[38:39]
	s_add_u32 s36, s36, 1
	s_addc_u32 s37, s37, 0
	s_waitcnt vmcnt(0)
	v_and_b32_e32 v1, 0xffff, v1
	v_lshlrev_b64 v[3:4], s34, v[1:2]
	s_add_u32 s34, s34, 8
	s_addc_u32 s35, s35, 0
	v_or_b32_e32 v17, v3, v17
	s_cmp_lg_u32 s33, s36
	v_or_b32_e32 v18, v4, v18
	s_cbranch_scc1 .LBB0_648
	s_branch .LBB0_651
.LBB0_649:                              ;   in Loop: Header=BB0_621 Depth=2
                                        ; implicit-def: $vgpr17_vgpr18
	s_mov_b32 s38, 0
	s_branch .LBB0_652
.LBB0_650:                              ;   in Loop: Header=BB0_621 Depth=2
	v_mov_b32_e32 v17, 0
	v_mov_b32_e32 v18, 0
.LBB0_651:                              ;   in Loop: Header=BB0_621 Depth=2
	s_mov_b64 s[34:35], s[0:1]
	s_mov_b32 s38, 0
	s_cbranch_execnz .LBB0_653
.LBB0_652:                              ;   in Loop: Header=BB0_621 Depth=2
	global_load_dwordx2 v[17:18], v2, s[0:1]
	s_add_i32 s38, s33, -8
.LBB0_653:                              ;   in Loop: Header=BB0_621 Depth=2
	s_add_u32 s0, s34, 8
	s_addc_u32 s1, s35, 0
	s_cmp_gt_u32 s38, 7
	s_cbranch_scc1 .LBB0_657
; %bb.654:                              ;   in Loop: Header=BB0_621 Depth=2
	s_cmp_eq_u32 s38, 0
	s_cbranch_scc1 .LBB0_658
; %bb.655:                              ;   in Loop: Header=BB0_621 Depth=2
	v_mov_b32_e32 v19, 0
	s_mov_b64 s[0:1], 0
	v_mov_b32_e32 v20, 0
	s_mov_b64 s[36:37], 0
.LBB0_656:                              ;   Parent Loop BB0_142 Depth=1
                                        ;     Parent Loop BB0_621 Depth=2
                                        ; =>    This Inner Loop Header: Depth=3
	s_add_u32 s40, s34, s36
	s_addc_u32 s41, s35, s37
	global_load_ubyte v1, v2, s[40:41]
	s_add_u32 s36, s36, 1
	s_addc_u32 s37, s37, 0
	s_waitcnt vmcnt(0)
	v_and_b32_e32 v1, 0xffff, v1
	v_lshlrev_b64 v[3:4], s0, v[1:2]
	s_add_u32 s0, s0, 8
	s_addc_u32 s1, s1, 0
	v_or_b32_e32 v19, v3, v19
	s_cmp_lg_u32 s38, s36
	v_or_b32_e32 v20, v4, v20
	s_cbranch_scc1 .LBB0_656
	s_branch .LBB0_659
.LBB0_657:                              ;   in Loop: Header=BB0_621 Depth=2
	s_mov_b32 s33, 0
	s_branch .LBB0_660
.LBB0_658:                              ;   in Loop: Header=BB0_621 Depth=2
	v_mov_b32_e32 v19, 0
	v_mov_b32_e32 v20, 0
.LBB0_659:                              ;   in Loop: Header=BB0_621 Depth=2
	s_mov_b64 s[0:1], s[34:35]
	s_mov_b32 s33, 0
	s_cbranch_execnz .LBB0_661
.LBB0_660:                              ;   in Loop: Header=BB0_621 Depth=2
	global_load_dwordx2 v[19:20], v2, s[34:35]
	s_add_i32 s33, s38, -8
.LBB0_661:                              ;   in Loop: Header=BB0_621 Depth=2
	s_add_u32 s34, s0, 8
	s_addc_u32 s35, s1, 0
	s_cmp_gt_u32 s33, 7
	s_cbranch_scc1 .LBB0_665
; %bb.662:                              ;   in Loop: Header=BB0_621 Depth=2
	s_cmp_eq_u32 s33, 0
	s_cbranch_scc1 .LBB0_666
; %bb.663:                              ;   in Loop: Header=BB0_621 Depth=2
	v_mov_b32_e32 v21, 0
	s_mov_b64 s[34:35], 0
	v_mov_b32_e32 v22, 0
	s_mov_b64 s[36:37], 0
.LBB0_664:                              ;   Parent Loop BB0_142 Depth=1
                                        ;     Parent Loop BB0_621 Depth=2
                                        ; =>    This Inner Loop Header: Depth=3
	s_add_u32 s38, s0, s36
	s_addc_u32 s39, s1, s37
	global_load_ubyte v1, v2, s[38:39]
	s_add_u32 s36, s36, 1
	s_addc_u32 s37, s37, 0
	s_waitcnt vmcnt(0)
	v_and_b32_e32 v1, 0xffff, v1
	v_lshlrev_b64 v[3:4], s34, v[1:2]
	s_add_u32 s34, s34, 8
	s_addc_u32 s35, s35, 0
	v_or_b32_e32 v21, v3, v21
	s_cmp_lg_u32 s33, s36
	v_or_b32_e32 v22, v4, v22
	s_cbranch_scc1 .LBB0_664
	s_branch .LBB0_667
.LBB0_665:                              ;   in Loop: Header=BB0_621 Depth=2
                                        ; implicit-def: $vgpr21_vgpr22
	s_mov_b32 s38, 0
	s_branch .LBB0_668
.LBB0_666:                              ;   in Loop: Header=BB0_621 Depth=2
	v_mov_b32_e32 v21, 0
	v_mov_b32_e32 v22, 0
.LBB0_667:                              ;   in Loop: Header=BB0_621 Depth=2
	s_mov_b64 s[34:35], s[0:1]
	s_mov_b32 s38, 0
	s_cbranch_execnz .LBB0_669
.LBB0_668:                              ;   in Loop: Header=BB0_621 Depth=2
	global_load_dwordx2 v[21:22], v2, s[0:1]
	s_add_i32 s38, s33, -8
.LBB0_669:                              ;   in Loop: Header=BB0_621 Depth=2
	s_cmp_gt_u32 s38, 7
	s_cbranch_scc1 .LBB0_673
; %bb.670:                              ;   in Loop: Header=BB0_621 Depth=2
	s_cmp_eq_u32 s38, 0
	s_cbranch_scc1 .LBB0_674
; %bb.671:                              ;   in Loop: Header=BB0_621 Depth=2
	v_mov_b32_e32 v23, 0
	s_mov_b64 s[0:1], 0
	v_mov_b32_e32 v24, 0
	s_mov_b64 s[36:37], s[34:35]
.LBB0_672:                              ;   Parent Loop BB0_142 Depth=1
                                        ;     Parent Loop BB0_621 Depth=2
                                        ; =>    This Inner Loop Header: Depth=3
	global_load_ubyte v1, v2, s[36:37]
	s_add_i32 s38, s38, -1
	s_waitcnt vmcnt(0)
	v_and_b32_e32 v1, 0xffff, v1
	v_lshlrev_b64 v[3:4], s0, v[1:2]
	s_add_u32 s0, s0, 8
	s_addc_u32 s1, s1, 0
	s_add_u32 s36, s36, 1
	s_addc_u32 s37, s37, 0
	v_or_b32_e32 v23, v3, v23
	s_cmp_lg_u32 s38, 0
	v_or_b32_e32 v24, v4, v24
	s_cbranch_scc1 .LBB0_672
	s_branch .LBB0_675
.LBB0_673:                              ;   in Loop: Header=BB0_621 Depth=2
	s_branch .LBB0_676
.LBB0_674:                              ;   in Loop: Header=BB0_621 Depth=2
	v_mov_b32_e32 v23, 0
	v_mov_b32_e32 v24, 0
.LBB0_675:                              ;   in Loop: Header=BB0_621 Depth=2
	s_cbranch_execnz .LBB0_677
.LBB0_676:                              ;   in Loop: Header=BB0_621 Depth=2
	global_load_dwordx2 v[23:24], v2, s[34:35]
.LBB0_677:                              ;   in Loop: Header=BB0_621 Depth=2
	v_readfirstlane_b32 s0, v31
	v_mov_b32_e32 v3, 0
	v_mov_b32_e32 v4, 0
	v_cmp_eq_u32_e64 s[0:1], s0, v31
	s_and_saveexec_b64 s[34:35], s[0:1]
	s_cbranch_execz .LBB0_683
; %bb.678:                              ;   in Loop: Header=BB0_621 Depth=2
	global_load_dwordx2 v[27:28], v2, s[2:3] offset:24 glc
	s_waitcnt vmcnt(0)
	buffer_wbinvl1_vol
	global_load_dwordx2 v[3:4], v2, s[2:3] offset:40
	global_load_dwordx2 v[25:26], v2, s[2:3]
	s_waitcnt vmcnt(1)
	v_and_b32_e32 v1, v3, v27
	v_and_b32_e32 v3, v4, v28
	v_mul_lo_u32 v3, v3, 24
	v_mul_hi_u32 v4, v1, 24
	v_mul_lo_u32 v1, v1, 24
	v_add_u32_e32 v4, v4, v3
	s_waitcnt vmcnt(0)
	v_add_co_u32_e32 v3, vcc, v25, v1
	v_addc_co_u32_e32 v4, vcc, v26, v4, vcc
	global_load_dwordx2 v[25:26], v[3:4], off glc
	s_waitcnt vmcnt(0)
	global_atomic_cmpswap_x2 v[3:4], v2, v[25:28], s[2:3] offset:24 glc
	s_waitcnt vmcnt(0)
	buffer_wbinvl1_vol
	v_cmp_ne_u64_e32 vcc, v[3:4], v[27:28]
	s_and_saveexec_b64 s[36:37], vcc
	s_cbranch_execz .LBB0_682
; %bb.679:                              ;   in Loop: Header=BB0_621 Depth=2
	s_mov_b64 s[38:39], 0
.LBB0_680:                              ;   Parent Loop BB0_142 Depth=1
                                        ;     Parent Loop BB0_621 Depth=2
                                        ; =>    This Inner Loop Header: Depth=3
	s_sleep 1
	global_load_dwordx2 v[25:26], v2, s[2:3] offset:40
	global_load_dwordx2 v[29:30], v2, s[2:3]
	v_mov_b32_e32 v28, v4
	v_mov_b32_e32 v27, v3
	s_waitcnt vmcnt(1)
	v_and_b32_e32 v1, v25, v27
	s_waitcnt vmcnt(0)
	v_mad_u64_u32 v[3:4], s[40:41], v1, 24, v[29:30]
	v_and_b32_e32 v25, v26, v28
	v_mov_b32_e32 v1, v4
	v_mad_u64_u32 v[25:26], s[40:41], v25, 24, v[1:2]
	v_mov_b32_e32 v4, v25
	global_load_dwordx2 v[25:26], v[3:4], off glc
	s_waitcnt vmcnt(0)
	global_atomic_cmpswap_x2 v[3:4], v2, v[25:28], s[2:3] offset:24 glc
	s_waitcnt vmcnt(0)
	buffer_wbinvl1_vol
	v_cmp_eq_u64_e32 vcc, v[3:4], v[27:28]
	s_or_b64 s[38:39], vcc, s[38:39]
	s_andn2_b64 exec, exec, s[38:39]
	s_cbranch_execnz .LBB0_680
; %bb.681:                              ;   in Loop: Header=BB0_621 Depth=2
	s_or_b64 exec, exec, s[38:39]
.LBB0_682:                              ;   in Loop: Header=BB0_621 Depth=2
	s_or_b64 exec, exec, s[36:37]
.LBB0_683:                              ;   in Loop: Header=BB0_621 Depth=2
	s_or_b64 exec, exec, s[34:35]
	global_load_dwordx2 v[29:30], v2, s[2:3] offset:40
	global_load_dwordx4 v[25:28], v2, s[2:3]
	v_readfirstlane_b32 s35, v4
	v_readfirstlane_b32 s34, v3
	s_mov_b64 s[36:37], exec
	s_waitcnt vmcnt(1)
	v_readfirstlane_b32 s38, v29
	v_readfirstlane_b32 s39, v30
	s_and_b64 s[38:39], s[38:39], s[34:35]
	s_mul_i32 s33, s39, 24
	s_mul_hi_u32 s40, s38, 24
	s_mul_i32 s41, s38, 24
	s_add_i32 s33, s40, s33
	v_mov_b32_e32 v1, s33
	s_waitcnt vmcnt(0)
	v_add_co_u32_e32 v29, vcc, s41, v25
	v_addc_co_u32_e32 v30, vcc, v26, v1, vcc
	s_and_saveexec_b64 s[40:41], s[0:1]
	s_cbranch_execz .LBB0_685
; %bb.684:                              ;   in Loop: Header=BB0_621 Depth=2
	v_mov_b32_e32 v3, s36
	v_mov_b32_e32 v4, s37
	global_store_dwordx4 v[29:30], v[3:6], off offset:8
.LBB0_685:                              ;   in Loop: Header=BB0_621 Depth=2
	s_or_b64 exec, exec, s[40:41]
	s_lshl_b64 s[36:37], s[38:39], 12
	v_mov_b32_e32 v1, s37
	v_add_co_u32_e32 v27, vcc, s36, v27
	v_addc_co_u32_e32 v28, vcc, v28, v1, vcc
	v_cmp_lt_u64_e64 vcc, s[28:29], 57
	v_and_b32_e32 v1, 2, v11
	s_lshl_b32 s33, s30, 2
	v_cndmask_b32_e32 v1, 0, v1, vcc
	s_add_i32 s33, s33, 28
	v_and_b32_e32 v3, 0xffffff1f, v7
	s_and_b32 s33, s33, 0x1e0
	v_or_b32_e32 v1, v3, v1
	v_or_b32_e32 v7, s33, v1
	v_readfirstlane_b32 s36, v27
	v_readfirstlane_b32 s37, v28
	s_nop 4
	global_store_dwordx4 v32, v[7:10], s[36:37]
	global_store_dwordx4 v32, v[13:16], s[36:37] offset:16
	global_store_dwordx4 v32, v[17:20], s[36:37] offset:32
	;; [unrolled: 1-line block ×3, first 2 shown]
	s_and_saveexec_b64 s[36:37], s[0:1]
	s_cbranch_execz .LBB0_693
; %bb.686:                              ;   in Loop: Header=BB0_621 Depth=2
	global_load_dwordx2 v[15:16], v2, s[2:3] offset:32 glc
	global_load_dwordx2 v[3:4], v2, s[2:3] offset:40
	v_mov_b32_e32 v13, s34
	v_mov_b32_e32 v14, s35
	s_waitcnt vmcnt(0)
	v_readfirstlane_b32 s38, v3
	v_readfirstlane_b32 s39, v4
	s_and_b64 s[38:39], s[38:39], s[34:35]
	s_mul_i32 s33, s39, 24
	s_mul_hi_u32 s39, s38, 24
	s_mul_i32 s38, s38, 24
	s_add_i32 s33, s39, s33
	v_mov_b32_e32 v1, s33
	v_add_co_u32_e32 v3, vcc, s38, v25
	v_addc_co_u32_e32 v4, vcc, v26, v1, vcc
	global_store_dwordx2 v[3:4], v[15:16], off
	s_waitcnt vmcnt(0)
	global_atomic_cmpswap_x2 v[9:10], v2, v[13:16], s[2:3] offset:32 glc
	s_waitcnt vmcnt(0)
	v_cmp_ne_u64_e32 vcc, v[9:10], v[15:16]
	s_and_saveexec_b64 s[38:39], vcc
	s_cbranch_execz .LBB0_689
; %bb.687:                              ;   in Loop: Header=BB0_621 Depth=2
	s_mov_b64 s[40:41], 0
.LBB0_688:                              ;   Parent Loop BB0_142 Depth=1
                                        ;     Parent Loop BB0_621 Depth=2
                                        ; =>    This Inner Loop Header: Depth=3
	s_sleep 1
	global_store_dwordx2 v[3:4], v[9:10], off
	v_mov_b32_e32 v7, s34
	v_mov_b32_e32 v8, s35
	s_waitcnt vmcnt(0)
	global_atomic_cmpswap_x2 v[7:8], v2, v[7:10], s[2:3] offset:32 glc
	s_waitcnt vmcnt(0)
	v_cmp_eq_u64_e32 vcc, v[7:8], v[9:10]
	v_mov_b32_e32 v10, v8
	s_or_b64 s[40:41], vcc, s[40:41]
	v_mov_b32_e32 v9, v7
	s_andn2_b64 exec, exec, s[40:41]
	s_cbranch_execnz .LBB0_688
.LBB0_689:                              ;   in Loop: Header=BB0_621 Depth=2
	s_or_b64 exec, exec, s[38:39]
	global_load_dwordx2 v[3:4], v2, s[2:3] offset:16
	s_mov_b64 s[40:41], exec
	v_mbcnt_lo_u32_b32 v1, s40, 0
	v_mbcnt_hi_u32_b32 v1, s41, v1
	v_cmp_eq_u32_e32 vcc, 0, v1
	s_and_saveexec_b64 s[38:39], vcc
	s_cbranch_execz .LBB0_691
; %bb.690:                              ;   in Loop: Header=BB0_621 Depth=2
	s_bcnt1_i32_b64 s33, s[40:41]
	v_mov_b32_e32 v1, s33
	s_waitcnt vmcnt(0)
	global_atomic_add_x2 v[3:4], v[1:2], off offset:8
.LBB0_691:                              ;   in Loop: Header=BB0_621 Depth=2
	s_or_b64 exec, exec, s[38:39]
	s_waitcnt vmcnt(0)
	global_load_dwordx2 v[7:8], v[3:4], off offset:16
	s_waitcnt vmcnt(0)
	v_cmp_eq_u64_e32 vcc, 0, v[7:8]
	s_cbranch_vccnz .LBB0_693
; %bb.692:                              ;   in Loop: Header=BB0_621 Depth=2
	global_load_dword v1, v[3:4], off offset:24
	s_waitcnt vmcnt(0)
	v_readfirstlane_b32 s33, v1
	s_and_b32 m0, s33, 0xffffff
	global_store_dwordx2 v[7:8], v[1:2], off
	s_sendmsg sendmsg(MSG_INTERRUPT)
.LBB0_693:                              ;   in Loop: Header=BB0_621 Depth=2
	s_or_b64 exec, exec, s[36:37]
	v_add_co_u32_e32 v3, vcc, v27, v32
	v_addc_co_u32_e32 v4, vcc, 0, v28, vcc
	s_branch .LBB0_697
.LBB0_694:                              ;   in Loop: Header=BB0_697 Depth=3
	s_or_b64 exec, exec, s[36:37]
	v_readfirstlane_b32 s33, v1
	s_cmp_eq_u32 s33, 0
	s_cbranch_scc1 .LBB0_696
; %bb.695:                              ;   in Loop: Header=BB0_697 Depth=3
	s_sleep 1
	s_cbranch_execnz .LBB0_697
	s_branch .LBB0_699
.LBB0_696:                              ;   in Loop: Header=BB0_621 Depth=2
	s_branch .LBB0_699
.LBB0_697:                              ;   Parent Loop BB0_142 Depth=1
                                        ;     Parent Loop BB0_621 Depth=2
                                        ; =>    This Inner Loop Header: Depth=3
	v_mov_b32_e32 v1, 1
	s_and_saveexec_b64 s[36:37], s[0:1]
	s_cbranch_execz .LBB0_694
; %bb.698:                              ;   in Loop: Header=BB0_697 Depth=3
	global_load_dword v1, v[29:30], off offset:20 glc
	s_waitcnt vmcnt(0)
	buffer_wbinvl1_vol
	v_and_b32_e32 v1, 1, v1
	s_branch .LBB0_694
.LBB0_699:                              ;   in Loop: Header=BB0_621 Depth=2
	global_load_dwordx2 v[7:8], v[3:4], off
	s_and_saveexec_b64 s[36:37], s[0:1]
	s_cbranch_execz .LBB0_620
; %bb.700:                              ;   in Loop: Header=BB0_621 Depth=2
	global_load_dwordx2 v[3:4], v2, s[2:3] offset:40
	global_load_dwordx2 v[17:18], v2, s[2:3] offset:24 glc
	global_load_dwordx2 v[9:10], v2, s[2:3]
	s_waitcnt vmcnt(2)
	v_readfirstlane_b32 s38, v3
	v_readfirstlane_b32 s39, v4
	s_add_u32 s33, s38, 1
	s_addc_u32 s40, s39, 0
	s_add_u32 s0, s33, s34
	s_addc_u32 s1, s40, s35
	s_cmp_eq_u64 s[0:1], 0
	s_cselect_b32 s1, s40, s1
	s_cselect_b32 s0, s33, s0
	s_and_b64 s[34:35], s[0:1], s[38:39]
	s_mul_i32 s33, s35, 24
	s_mul_hi_u32 s35, s34, 24
	s_mul_i32 s34, s34, 24
	s_add_i32 s33, s35, s33
	v_mov_b32_e32 v1, s33
	s_waitcnt vmcnt(0)
	v_add_co_u32_e32 v3, vcc, s34, v9
	v_addc_co_u32_e32 v4, vcc, v10, v1, vcc
	v_mov_b32_e32 v15, s0
	global_store_dwordx2 v[3:4], v[17:18], off
	v_mov_b32_e32 v16, s1
	s_waitcnt vmcnt(0)
	global_atomic_cmpswap_x2 v[15:16], v2, v[15:18], s[2:3] offset:24 glc
	s_waitcnt vmcnt(0)
	v_cmp_ne_u64_e32 vcc, v[15:16], v[17:18]
	s_and_b64 exec, exec, vcc
	s_cbranch_execz .LBB0_620
; %bb.701:                              ;   in Loop: Header=BB0_621 Depth=2
	s_mov_b64 s[34:35], 0
.LBB0_702:                              ;   Parent Loop BB0_142 Depth=1
                                        ;     Parent Loop BB0_621 Depth=2
                                        ; =>    This Inner Loop Header: Depth=3
	s_sleep 1
	global_store_dwordx2 v[3:4], v[15:16], off
	v_mov_b32_e32 v13, s0
	v_mov_b32_e32 v14, s1
	s_waitcnt vmcnt(0)
	global_atomic_cmpswap_x2 v[9:10], v2, v[13:16], s[2:3] offset:24 glc
	s_waitcnt vmcnt(0)
	v_cmp_eq_u64_e32 vcc, v[9:10], v[15:16]
	v_mov_b32_e32 v16, v10
	s_or_b64 s[34:35], vcc, s[34:35]
	v_mov_b32_e32 v15, v9
	s_andn2_b64 exec, exec, s[34:35]
	s_cbranch_execnz .LBB0_702
	s_branch .LBB0_620
.LBB0_703:                              ;   in Loop: Header=BB0_142 Depth=1
	s_branch .LBB0_732
.LBB0_704:                              ;   in Loop: Header=BB0_142 Depth=1
                                        ; implicit-def: $vgpr7_vgpr8
	s_cbranch_execz .LBB0_732
; %bb.705:                              ;   in Loop: Header=BB0_142 Depth=1
	v_readfirstlane_b32 s0, v31
	v_mov_b32_e32 v3, 0
	v_mov_b32_e32 v4, 0
	v_cmp_eq_u32_e64 s[0:1], s0, v31
	s_and_saveexec_b64 s[26:27], s[0:1]
	s_cbranch_execz .LBB0_711
; %bb.706:                              ;   in Loop: Header=BB0_142 Depth=1
	global_load_dwordx2 v[9:10], v2, s[2:3] offset:24 glc
	s_waitcnt vmcnt(0)
	buffer_wbinvl1_vol
	global_load_dwordx2 v[3:4], v2, s[2:3] offset:40
	global_load_dwordx2 v[7:8], v2, s[2:3]
	s_waitcnt vmcnt(1)
	v_and_b32_e32 v1, v3, v9
	v_and_b32_e32 v3, v4, v10
	v_mul_lo_u32 v3, v3, 24
	v_mul_hi_u32 v4, v1, 24
	v_mul_lo_u32 v1, v1, 24
	v_add_u32_e32 v4, v4, v3
	s_waitcnt vmcnt(0)
	v_add_co_u32_e32 v3, vcc, v7, v1
	v_addc_co_u32_e32 v4, vcc, v8, v4, vcc
	global_load_dwordx2 v[7:8], v[3:4], off glc
	s_waitcnt vmcnt(0)
	global_atomic_cmpswap_x2 v[3:4], v2, v[7:10], s[2:3] offset:24 glc
	s_waitcnt vmcnt(0)
	buffer_wbinvl1_vol
	v_cmp_ne_u64_e32 vcc, v[3:4], v[9:10]
	s_and_saveexec_b64 s[28:29], vcc
	s_cbranch_execz .LBB0_710
; %bb.707:                              ;   in Loop: Header=BB0_142 Depth=1
	s_mov_b64 s[30:31], 0
.LBB0_708:                              ;   Parent Loop BB0_142 Depth=1
                                        ; =>  This Inner Loop Header: Depth=2
	s_sleep 1
	global_load_dwordx2 v[7:8], v2, s[2:3] offset:40
	global_load_dwordx2 v[13:14], v2, s[2:3]
	v_mov_b32_e32 v10, v4
	v_mov_b32_e32 v9, v3
	s_waitcnt vmcnt(1)
	v_and_b32_e32 v1, v7, v9
	s_waitcnt vmcnt(0)
	v_mad_u64_u32 v[3:4], s[34:35], v1, 24, v[13:14]
	v_and_b32_e32 v7, v8, v10
	v_mov_b32_e32 v1, v4
	v_mad_u64_u32 v[7:8], s[34:35], v7, 24, v[1:2]
	v_mov_b32_e32 v4, v7
	global_load_dwordx2 v[7:8], v[3:4], off glc
	s_waitcnt vmcnt(0)
	global_atomic_cmpswap_x2 v[3:4], v2, v[7:10], s[2:3] offset:24 glc
	s_waitcnt vmcnt(0)
	buffer_wbinvl1_vol
	v_cmp_eq_u64_e32 vcc, v[3:4], v[9:10]
	s_or_b64 s[30:31], vcc, s[30:31]
	s_andn2_b64 exec, exec, s[30:31]
	s_cbranch_execnz .LBB0_708
; %bb.709:                              ;   in Loop: Header=BB0_142 Depth=1
	s_or_b64 exec, exec, s[30:31]
.LBB0_710:                              ;   in Loop: Header=BB0_142 Depth=1
	s_or_b64 exec, exec, s[28:29]
.LBB0_711:                              ;   in Loop: Header=BB0_142 Depth=1
	s_or_b64 exec, exec, s[26:27]
	global_load_dwordx2 v[13:14], v2, s[2:3] offset:40
	global_load_dwordx4 v[7:10], v2, s[2:3]
	v_readfirstlane_b32 s27, v4
	v_readfirstlane_b32 s26, v3
	s_mov_b64 s[28:29], exec
	s_waitcnt vmcnt(1)
	v_readfirstlane_b32 s30, v13
	v_readfirstlane_b32 s31, v14
	s_and_b64 s[30:31], s[30:31], s[26:27]
	s_mul_i32 s33, s31, 24
	s_mul_hi_u32 s34, s30, 24
	s_mul_i32 s35, s30, 24
	s_add_i32 s33, s34, s33
	v_mov_b32_e32 v1, s33
	s_waitcnt vmcnt(0)
	v_add_co_u32_e32 v15, vcc, s35, v7
	v_addc_co_u32_e32 v16, vcc, v8, v1, vcc
	s_and_saveexec_b64 s[34:35], s[0:1]
	s_cbranch_execz .LBB0_713
; %bb.712:                              ;   in Loop: Header=BB0_142 Depth=1
	v_mov_b32_e32 v3, s28
	v_mov_b32_e32 v4, s29
	global_store_dwordx4 v[15:16], v[3:6], off offset:8
.LBB0_713:                              ;   in Loop: Header=BB0_142 Depth=1
	s_or_b64 exec, exec, s[34:35]
	s_lshl_b64 s[28:29], s[30:31], 12
	v_mov_b32_e32 v1, s29
	v_add_co_u32_e32 v17, vcc, s28, v9
	v_addc_co_u32_e32 v18, vcc, v10, v1, vcc
	v_and_or_b32 v11, v11, s8, 32
	v_mov_b32_e32 v13, v2
	v_mov_b32_e32 v14, v2
	v_readfirstlane_b32 s28, v17
	v_readfirstlane_b32 s29, v18
	s_nop 4
	global_store_dwordx4 v32, v[11:14], s[28:29]
	s_nop 0
	v_mov_b32_e32 v12, s7
	v_mov_b32_e32 v11, s6
	;; [unrolled: 1-line block ×4, first 2 shown]
	global_store_dwordx4 v32, v[9:12], s[28:29] offset:16
	global_store_dwordx4 v32, v[9:12], s[28:29] offset:32
	global_store_dwordx4 v32, v[9:12], s[28:29] offset:48
	s_and_saveexec_b64 s[28:29], s[0:1]
	s_cbranch_execz .LBB0_721
; %bb.714:                              ;   in Loop: Header=BB0_142 Depth=1
	global_load_dwordx2 v[11:12], v2, s[2:3] offset:32 glc
	global_load_dwordx2 v[3:4], v2, s[2:3] offset:40
	v_mov_b32_e32 v9, s26
	v_mov_b32_e32 v10, s27
	s_waitcnt vmcnt(0)
	v_readfirstlane_b32 s30, v3
	v_readfirstlane_b32 s31, v4
	s_and_b64 s[30:31], s[30:31], s[26:27]
	s_mul_i32 s31, s31, 24
	s_mul_hi_u32 s33, s30, 24
	s_mul_i32 s30, s30, 24
	s_add_i32 s31, s33, s31
	v_mov_b32_e32 v1, s31
	v_add_co_u32_e32 v3, vcc, s30, v7
	v_addc_co_u32_e32 v4, vcc, v8, v1, vcc
	global_store_dwordx2 v[3:4], v[11:12], off
	s_waitcnt vmcnt(0)
	global_atomic_cmpswap_x2 v[9:10], v2, v[9:12], s[2:3] offset:32 glc
	s_waitcnt vmcnt(0)
	v_cmp_ne_u64_e32 vcc, v[9:10], v[11:12]
	s_and_saveexec_b64 s[30:31], vcc
	s_cbranch_execz .LBB0_717
; %bb.715:                              ;   in Loop: Header=BB0_142 Depth=1
	s_mov_b64 s[34:35], 0
.LBB0_716:                              ;   Parent Loop BB0_142 Depth=1
                                        ; =>  This Inner Loop Header: Depth=2
	s_sleep 1
	global_store_dwordx2 v[3:4], v[9:10], off
	v_mov_b32_e32 v7, s26
	v_mov_b32_e32 v8, s27
	s_waitcnt vmcnt(0)
	global_atomic_cmpswap_x2 v[7:8], v2, v[7:10], s[2:3] offset:32 glc
	s_waitcnt vmcnt(0)
	v_cmp_eq_u64_e32 vcc, v[7:8], v[9:10]
	v_mov_b32_e32 v10, v8
	s_or_b64 s[34:35], vcc, s[34:35]
	v_mov_b32_e32 v9, v7
	s_andn2_b64 exec, exec, s[34:35]
	s_cbranch_execnz .LBB0_716
.LBB0_717:                              ;   in Loop: Header=BB0_142 Depth=1
	s_or_b64 exec, exec, s[30:31]
	global_load_dwordx2 v[3:4], v2, s[2:3] offset:16
	s_mov_b64 s[34:35], exec
	v_mbcnt_lo_u32_b32 v1, s34, 0
	v_mbcnt_hi_u32_b32 v1, s35, v1
	v_cmp_eq_u32_e32 vcc, 0, v1
	s_and_saveexec_b64 s[30:31], vcc
	s_cbranch_execz .LBB0_719
; %bb.718:                              ;   in Loop: Header=BB0_142 Depth=1
	s_bcnt1_i32_b64 s33, s[34:35]
	v_mov_b32_e32 v1, s33
	s_waitcnt vmcnt(0)
	global_atomic_add_x2 v[3:4], v[1:2], off offset:8
.LBB0_719:                              ;   in Loop: Header=BB0_142 Depth=1
	s_or_b64 exec, exec, s[30:31]
	s_waitcnt vmcnt(0)
	global_load_dwordx2 v[7:8], v[3:4], off offset:16
	s_waitcnt vmcnt(0)
	v_cmp_eq_u64_e32 vcc, 0, v[7:8]
	s_cbranch_vccnz .LBB0_721
; %bb.720:                              ;   in Loop: Header=BB0_142 Depth=1
	global_load_dword v1, v[3:4], off offset:24
	s_waitcnt vmcnt(0)
	v_readfirstlane_b32 s30, v1
	s_and_b32 m0, s30, 0xffffff
	global_store_dwordx2 v[7:8], v[1:2], off
	s_sendmsg sendmsg(MSG_INTERRUPT)
.LBB0_721:                              ;   in Loop: Header=BB0_142 Depth=1
	s_or_b64 exec, exec, s[28:29]
	v_add_co_u32_e32 v3, vcc, v17, v32
	v_addc_co_u32_e32 v4, vcc, 0, v18, vcc
	s_branch .LBB0_725
.LBB0_722:                              ;   in Loop: Header=BB0_725 Depth=2
	s_or_b64 exec, exec, s[28:29]
	v_readfirstlane_b32 s28, v1
	s_cmp_eq_u32 s28, 0
	s_cbranch_scc1 .LBB0_724
; %bb.723:                              ;   in Loop: Header=BB0_725 Depth=2
	s_sleep 1
	s_cbranch_execnz .LBB0_725
	s_branch .LBB0_727
.LBB0_724:                              ;   in Loop: Header=BB0_142 Depth=1
	s_branch .LBB0_727
.LBB0_725:                              ;   Parent Loop BB0_142 Depth=1
                                        ; =>  This Inner Loop Header: Depth=2
	v_mov_b32_e32 v1, 1
	s_and_saveexec_b64 s[28:29], s[0:1]
	s_cbranch_execz .LBB0_722
; %bb.726:                              ;   in Loop: Header=BB0_725 Depth=2
	global_load_dword v1, v[15:16], off offset:20 glc
	s_waitcnt vmcnt(0)
	buffer_wbinvl1_vol
	v_and_b32_e32 v1, 1, v1
	s_branch .LBB0_722
.LBB0_727:                              ;   in Loop: Header=BB0_142 Depth=1
	global_load_dwordx2 v[7:8], v[3:4], off
	s_and_saveexec_b64 s[28:29], s[0:1]
	s_cbranch_execz .LBB0_731
; %bb.728:                              ;   in Loop: Header=BB0_142 Depth=1
	global_load_dwordx2 v[3:4], v2, s[2:3] offset:40
	global_load_dwordx2 v[13:14], v2, s[2:3] offset:24 glc
	global_load_dwordx2 v[9:10], v2, s[2:3]
	s_waitcnt vmcnt(2)
	v_readfirstlane_b32 s30, v3
	v_readfirstlane_b32 s31, v4
	s_add_u32 s33, s30, 1
	s_addc_u32 s34, s31, 0
	s_add_u32 s0, s33, s26
	s_addc_u32 s1, s34, s27
	s_cmp_eq_u64 s[0:1], 0
	s_cselect_b32 s1, s34, s1
	s_cselect_b32 s0, s33, s0
	s_and_b64 s[26:27], s[0:1], s[30:31]
	s_mul_i32 s27, s27, 24
	s_mul_hi_u32 s30, s26, 24
	s_mul_i32 s26, s26, 24
	s_add_i32 s27, s30, s27
	v_mov_b32_e32 v1, s27
	s_waitcnt vmcnt(0)
	v_add_co_u32_e32 v3, vcc, s26, v9
	v_addc_co_u32_e32 v4, vcc, v10, v1, vcc
	v_mov_b32_e32 v11, s0
	global_store_dwordx2 v[3:4], v[13:14], off
	v_mov_b32_e32 v12, s1
	s_waitcnt vmcnt(0)
	global_atomic_cmpswap_x2 v[11:12], v2, v[11:14], s[2:3] offset:24 glc
	s_waitcnt vmcnt(0)
	v_cmp_ne_u64_e32 vcc, v[11:12], v[13:14]
	s_and_b64 exec, exec, vcc
	s_cbranch_execz .LBB0_731
; %bb.729:                              ;   in Loop: Header=BB0_142 Depth=1
	s_mov_b64 s[26:27], 0
.LBB0_730:                              ;   Parent Loop BB0_142 Depth=1
                                        ; =>  This Inner Loop Header: Depth=2
	s_sleep 1
	global_store_dwordx2 v[3:4], v[11:12], off
	v_mov_b32_e32 v9, s0
	v_mov_b32_e32 v10, s1
	s_waitcnt vmcnt(0)
	global_atomic_cmpswap_x2 v[9:10], v2, v[9:12], s[2:3] offset:24 glc
	s_waitcnt vmcnt(0)
	v_cmp_eq_u64_e32 vcc, v[9:10], v[11:12]
	v_mov_b32_e32 v12, v10
	s_or_b64 s[26:27], vcc, s[26:27]
	v_mov_b32_e32 v11, v9
	s_andn2_b64 exec, exec, s[26:27]
	s_cbranch_execnz .LBB0_730
.LBB0_731:                              ;   in Loop: Header=BB0_142 Depth=1
	s_or_b64 exec, exec, s[28:29]
.LBB0_732:                              ;   in Loop: Header=BB0_142 Depth=1
	s_and_b32 s28, s19, 1
	s_getpc_b64 s[0:1]
	s_add_u32 s0, s0, .str.4@rel32@lo+4
	s_addc_u32 s1, s1, .str.4@rel32@hi+12
	s_getpc_b64 s[26:27]
	s_add_u32 s26, s26, .str.3@rel32@lo+4
	s_addc_u32 s27, s27, .str.3@rel32@hi+12
	s_cmp_eq_u32 s28, 0
	s_cselect_b32 s27, s1, s27
	s_cselect_b32 s26, s0, s26
	s_cmp_lg_u64 s[26:27], 0
	s_cselect_b64 s[0:1], -1, 0
	s_cmp_eq_u64 s[26:27], 0
	s_mov_b64 s[28:29], 0
	s_cbranch_scc1 .LBB0_736
; %bb.733:                              ;   in Loop: Header=BB0_142 Depth=1
	s_add_u32 s28, s26, -1
	s_addc_u32 s29, s27, -1
.LBB0_734:                              ;   Parent Loop BB0_142 Depth=1
                                        ; =>  This Inner Loop Header: Depth=2
	global_load_ubyte v1, v2, s[28:29] offset:1
	s_add_u32 s30, s28, 1
	s_addc_u32 s31, s29, 0
	s_mov_b64 s[28:29], s[30:31]
	s_waitcnt vmcnt(0)
	v_cmp_ne_u32_e32 vcc, 0, v1
	s_cbranch_vccnz .LBB0_734
; %bb.735:                              ;   in Loop: Header=BB0_142 Depth=1
	s_sub_u32 s28, s30, s26
	s_subb_u32 s29, s31, s27
	s_add_u32 s28, s28, 1
	s_addc_u32 s29, s29, 0
.LBB0_736:                              ;   in Loop: Header=BB0_142 Depth=1
	s_and_b64 vcc, exec, s[0:1]
	s_cbranch_vccz .LBB0_822
; %bb.737:                              ;   in Loop: Header=BB0_142 Depth=1
	s_waitcnt vmcnt(0)
	v_and_b32_e32 v9, -3, v7
	v_mov_b32_e32 v10, v8
	s_branch .LBB0_739
.LBB0_738:                              ;   in Loop: Header=BB0_739 Depth=2
	s_or_b64 exec, exec, s[36:37]
	s_sub_u32 s28, s28, s30
	s_subb_u32 s29, s29, s31
	s_add_u32 s26, s26, s30
	s_addc_u32 s27, s27, s31
	s_cmp_lg_u64 s[28:29], 0
	s_cbranch_scc0 .LBB0_821
.LBB0_739:                              ;   Parent Loop BB0_142 Depth=1
                                        ; =>  This Loop Header: Depth=2
                                        ;       Child Loop BB0_742 Depth 3
                                        ;       Child Loop BB0_750 Depth 3
	;; [unrolled: 1-line block ×11, first 2 shown]
	v_cmp_lt_u64_e64 s[0:1], s[28:29], 56
	v_cmp_gt_u64_e64 s[34:35], s[28:29], 7
	s_and_b64 s[0:1], s[0:1], exec
	s_cselect_b32 s31, s29, 0
	s_cselect_b32 s30, s28, 56
	s_add_u32 s0, s26, 8
	s_addc_u32 s1, s27, 0
	s_and_b64 vcc, exec, s[34:35]
	s_cbranch_vccnz .LBB0_743
; %bb.740:                              ;   in Loop: Header=BB0_739 Depth=2
	s_cmp_eq_u64 s[28:29], 0
	s_cbranch_scc1 .LBB0_744
; %bb.741:                              ;   in Loop: Header=BB0_739 Depth=2
	v_mov_b32_e32 v11, 0
	s_lshl_b64 s[0:1], s[30:31], 3
	s_mov_b64 s[34:35], 0
	v_mov_b32_e32 v12, 0
	s_mov_b64 s[36:37], s[26:27]
.LBB0_742:                              ;   Parent Loop BB0_142 Depth=1
                                        ;     Parent Loop BB0_739 Depth=2
                                        ; =>    This Inner Loop Header: Depth=3
	global_load_ubyte v1, v2, s[36:37]
	s_waitcnt vmcnt(0)
	v_and_b32_e32 v1, 0xffff, v1
	v_lshlrev_b64 v[3:4], s34, v[1:2]
	s_add_u32 s34, s34, 8
	s_addc_u32 s35, s35, 0
	s_add_u32 s36, s36, 1
	s_addc_u32 s37, s37, 0
	v_or_b32_e32 v11, v3, v11
	s_cmp_lg_u32 s0, s34
	v_or_b32_e32 v12, v4, v12
	s_cbranch_scc1 .LBB0_742
	s_branch .LBB0_745
.LBB0_743:                              ;   in Loop: Header=BB0_739 Depth=2
	s_mov_b32 s33, 0
	s_branch .LBB0_746
.LBB0_744:                              ;   in Loop: Header=BB0_739 Depth=2
	v_mov_b32_e32 v11, 0
	v_mov_b32_e32 v12, 0
.LBB0_745:                              ;   in Loop: Header=BB0_739 Depth=2
	s_mov_b64 s[0:1], s[26:27]
	s_mov_b32 s33, 0
	s_cbranch_execnz .LBB0_747
.LBB0_746:                              ;   in Loop: Header=BB0_739 Depth=2
	global_load_dwordx2 v[11:12], v2, s[26:27]
	s_add_i32 s33, s30, -8
.LBB0_747:                              ;   in Loop: Header=BB0_739 Depth=2
	s_add_u32 s34, s0, 8
	s_addc_u32 s35, s1, 0
	s_cmp_gt_u32 s33, 7
	s_cbranch_scc1 .LBB0_751
; %bb.748:                              ;   in Loop: Header=BB0_739 Depth=2
	s_cmp_eq_u32 s33, 0
	s_cbranch_scc1 .LBB0_752
; %bb.749:                              ;   in Loop: Header=BB0_739 Depth=2
	v_mov_b32_e32 v13, 0
	s_mov_b64 s[34:35], 0
	v_mov_b32_e32 v14, 0
	s_mov_b64 s[36:37], 0
.LBB0_750:                              ;   Parent Loop BB0_142 Depth=1
                                        ;     Parent Loop BB0_739 Depth=2
                                        ; =>    This Inner Loop Header: Depth=3
	s_add_u32 s38, s0, s36
	s_addc_u32 s39, s1, s37
	global_load_ubyte v1, v2, s[38:39]
	s_add_u32 s36, s36, 1
	s_addc_u32 s37, s37, 0
	s_waitcnt vmcnt(0)
	v_and_b32_e32 v1, 0xffff, v1
	v_lshlrev_b64 v[3:4], s34, v[1:2]
	s_add_u32 s34, s34, 8
	s_addc_u32 s35, s35, 0
	v_or_b32_e32 v13, v3, v13
	s_cmp_lg_u32 s33, s36
	v_or_b32_e32 v14, v4, v14
	s_cbranch_scc1 .LBB0_750
	s_branch .LBB0_753
.LBB0_751:                              ;   in Loop: Header=BB0_739 Depth=2
                                        ; implicit-def: $vgpr13_vgpr14
	s_mov_b32 s38, 0
	s_branch .LBB0_754
.LBB0_752:                              ;   in Loop: Header=BB0_739 Depth=2
	v_mov_b32_e32 v13, 0
	v_mov_b32_e32 v14, 0
.LBB0_753:                              ;   in Loop: Header=BB0_739 Depth=2
	s_mov_b64 s[34:35], s[0:1]
	s_mov_b32 s38, 0
	s_cbranch_execnz .LBB0_755
.LBB0_754:                              ;   in Loop: Header=BB0_739 Depth=2
	global_load_dwordx2 v[13:14], v2, s[0:1]
	s_add_i32 s38, s33, -8
.LBB0_755:                              ;   in Loop: Header=BB0_739 Depth=2
	s_add_u32 s0, s34, 8
	s_addc_u32 s1, s35, 0
	s_cmp_gt_u32 s38, 7
	s_cbranch_scc1 .LBB0_759
; %bb.756:                              ;   in Loop: Header=BB0_739 Depth=2
	s_cmp_eq_u32 s38, 0
	s_cbranch_scc1 .LBB0_760
; %bb.757:                              ;   in Loop: Header=BB0_739 Depth=2
	v_mov_b32_e32 v15, 0
	s_mov_b64 s[0:1], 0
	v_mov_b32_e32 v16, 0
	s_mov_b64 s[36:37], 0
.LBB0_758:                              ;   Parent Loop BB0_142 Depth=1
                                        ;     Parent Loop BB0_739 Depth=2
                                        ; =>    This Inner Loop Header: Depth=3
	s_add_u32 s40, s34, s36
	s_addc_u32 s41, s35, s37
	global_load_ubyte v1, v2, s[40:41]
	s_add_u32 s36, s36, 1
	s_addc_u32 s37, s37, 0
	s_waitcnt vmcnt(0)
	v_and_b32_e32 v1, 0xffff, v1
	v_lshlrev_b64 v[3:4], s0, v[1:2]
	s_add_u32 s0, s0, 8
	s_addc_u32 s1, s1, 0
	v_or_b32_e32 v15, v3, v15
	s_cmp_lg_u32 s38, s36
	v_or_b32_e32 v16, v4, v16
	s_cbranch_scc1 .LBB0_758
	s_branch .LBB0_761
.LBB0_759:                              ;   in Loop: Header=BB0_739 Depth=2
	s_mov_b32 s33, 0
	s_branch .LBB0_762
.LBB0_760:                              ;   in Loop: Header=BB0_739 Depth=2
	v_mov_b32_e32 v15, 0
	v_mov_b32_e32 v16, 0
.LBB0_761:                              ;   in Loop: Header=BB0_739 Depth=2
	s_mov_b64 s[0:1], s[34:35]
	s_mov_b32 s33, 0
	s_cbranch_execnz .LBB0_763
.LBB0_762:                              ;   in Loop: Header=BB0_739 Depth=2
	global_load_dwordx2 v[15:16], v2, s[34:35]
	s_add_i32 s33, s38, -8
.LBB0_763:                              ;   in Loop: Header=BB0_739 Depth=2
	s_add_u32 s34, s0, 8
	s_addc_u32 s35, s1, 0
	s_cmp_gt_u32 s33, 7
	s_cbranch_scc1 .LBB0_767
; %bb.764:                              ;   in Loop: Header=BB0_739 Depth=2
	s_cmp_eq_u32 s33, 0
	s_cbranch_scc1 .LBB0_768
; %bb.765:                              ;   in Loop: Header=BB0_739 Depth=2
	v_mov_b32_e32 v17, 0
	s_mov_b64 s[34:35], 0
	v_mov_b32_e32 v18, 0
	s_mov_b64 s[36:37], 0
.LBB0_766:                              ;   Parent Loop BB0_142 Depth=1
                                        ;     Parent Loop BB0_739 Depth=2
                                        ; =>    This Inner Loop Header: Depth=3
	s_add_u32 s38, s0, s36
	s_addc_u32 s39, s1, s37
	global_load_ubyte v1, v2, s[38:39]
	s_add_u32 s36, s36, 1
	s_addc_u32 s37, s37, 0
	s_waitcnt vmcnt(0)
	v_and_b32_e32 v1, 0xffff, v1
	v_lshlrev_b64 v[3:4], s34, v[1:2]
	s_add_u32 s34, s34, 8
	s_addc_u32 s35, s35, 0
	v_or_b32_e32 v17, v3, v17
	s_cmp_lg_u32 s33, s36
	v_or_b32_e32 v18, v4, v18
	s_cbranch_scc1 .LBB0_766
	s_branch .LBB0_769
.LBB0_767:                              ;   in Loop: Header=BB0_739 Depth=2
                                        ; implicit-def: $vgpr17_vgpr18
	s_mov_b32 s38, 0
	s_branch .LBB0_770
.LBB0_768:                              ;   in Loop: Header=BB0_739 Depth=2
	v_mov_b32_e32 v17, 0
	v_mov_b32_e32 v18, 0
.LBB0_769:                              ;   in Loop: Header=BB0_739 Depth=2
	s_mov_b64 s[34:35], s[0:1]
	s_mov_b32 s38, 0
	s_cbranch_execnz .LBB0_771
.LBB0_770:                              ;   in Loop: Header=BB0_739 Depth=2
	global_load_dwordx2 v[17:18], v2, s[0:1]
	s_add_i32 s38, s33, -8
.LBB0_771:                              ;   in Loop: Header=BB0_739 Depth=2
	s_add_u32 s0, s34, 8
	s_addc_u32 s1, s35, 0
	s_cmp_gt_u32 s38, 7
	s_cbranch_scc1 .LBB0_775
; %bb.772:                              ;   in Loop: Header=BB0_739 Depth=2
	s_cmp_eq_u32 s38, 0
	s_cbranch_scc1 .LBB0_776
; %bb.773:                              ;   in Loop: Header=BB0_739 Depth=2
	v_mov_b32_e32 v19, 0
	s_mov_b64 s[0:1], 0
	v_mov_b32_e32 v20, 0
	s_mov_b64 s[36:37], 0
.LBB0_774:                              ;   Parent Loop BB0_142 Depth=1
                                        ;     Parent Loop BB0_739 Depth=2
                                        ; =>    This Inner Loop Header: Depth=3
	s_add_u32 s40, s34, s36
	s_addc_u32 s41, s35, s37
	global_load_ubyte v1, v2, s[40:41]
	s_add_u32 s36, s36, 1
	s_addc_u32 s37, s37, 0
	s_waitcnt vmcnt(0)
	v_and_b32_e32 v1, 0xffff, v1
	v_lshlrev_b64 v[3:4], s0, v[1:2]
	s_add_u32 s0, s0, 8
	s_addc_u32 s1, s1, 0
	v_or_b32_e32 v19, v3, v19
	s_cmp_lg_u32 s38, s36
	v_or_b32_e32 v20, v4, v20
	s_cbranch_scc1 .LBB0_774
	s_branch .LBB0_777
.LBB0_775:                              ;   in Loop: Header=BB0_739 Depth=2
	s_mov_b32 s33, 0
	s_branch .LBB0_778
.LBB0_776:                              ;   in Loop: Header=BB0_739 Depth=2
	v_mov_b32_e32 v19, 0
	v_mov_b32_e32 v20, 0
.LBB0_777:                              ;   in Loop: Header=BB0_739 Depth=2
	s_mov_b64 s[0:1], s[34:35]
	s_mov_b32 s33, 0
	s_cbranch_execnz .LBB0_779
.LBB0_778:                              ;   in Loop: Header=BB0_739 Depth=2
	global_load_dwordx2 v[19:20], v2, s[34:35]
	s_add_i32 s33, s38, -8
.LBB0_779:                              ;   in Loop: Header=BB0_739 Depth=2
	s_add_u32 s34, s0, 8
	s_addc_u32 s35, s1, 0
	s_cmp_gt_u32 s33, 7
	s_cbranch_scc1 .LBB0_783
; %bb.780:                              ;   in Loop: Header=BB0_739 Depth=2
	s_cmp_eq_u32 s33, 0
	s_cbranch_scc1 .LBB0_784
; %bb.781:                              ;   in Loop: Header=BB0_739 Depth=2
	v_mov_b32_e32 v21, 0
	s_mov_b64 s[34:35], 0
	v_mov_b32_e32 v22, 0
	s_mov_b64 s[36:37], 0
.LBB0_782:                              ;   Parent Loop BB0_142 Depth=1
                                        ;     Parent Loop BB0_739 Depth=2
                                        ; =>    This Inner Loop Header: Depth=3
	s_add_u32 s38, s0, s36
	s_addc_u32 s39, s1, s37
	global_load_ubyte v1, v2, s[38:39]
	s_add_u32 s36, s36, 1
	s_addc_u32 s37, s37, 0
	s_waitcnt vmcnt(0)
	v_and_b32_e32 v1, 0xffff, v1
	v_lshlrev_b64 v[3:4], s34, v[1:2]
	s_add_u32 s34, s34, 8
	s_addc_u32 s35, s35, 0
	v_or_b32_e32 v21, v3, v21
	s_cmp_lg_u32 s33, s36
	v_or_b32_e32 v22, v4, v22
	s_cbranch_scc1 .LBB0_782
	s_branch .LBB0_785
.LBB0_783:                              ;   in Loop: Header=BB0_739 Depth=2
                                        ; implicit-def: $vgpr21_vgpr22
	s_mov_b32 s38, 0
	s_branch .LBB0_786
.LBB0_784:                              ;   in Loop: Header=BB0_739 Depth=2
	v_mov_b32_e32 v21, 0
	v_mov_b32_e32 v22, 0
.LBB0_785:                              ;   in Loop: Header=BB0_739 Depth=2
	s_mov_b64 s[34:35], s[0:1]
	s_mov_b32 s38, 0
	s_cbranch_execnz .LBB0_787
.LBB0_786:                              ;   in Loop: Header=BB0_739 Depth=2
	global_load_dwordx2 v[21:22], v2, s[0:1]
	s_add_i32 s38, s33, -8
.LBB0_787:                              ;   in Loop: Header=BB0_739 Depth=2
	s_cmp_gt_u32 s38, 7
	s_cbranch_scc1 .LBB0_791
; %bb.788:                              ;   in Loop: Header=BB0_739 Depth=2
	s_cmp_eq_u32 s38, 0
	s_cbranch_scc1 .LBB0_792
; %bb.789:                              ;   in Loop: Header=BB0_739 Depth=2
	v_mov_b32_e32 v23, 0
	s_mov_b64 s[0:1], 0
	v_mov_b32_e32 v24, 0
	s_mov_b64 s[36:37], s[34:35]
.LBB0_790:                              ;   Parent Loop BB0_142 Depth=1
                                        ;     Parent Loop BB0_739 Depth=2
                                        ; =>    This Inner Loop Header: Depth=3
	global_load_ubyte v1, v2, s[36:37]
	s_add_i32 s38, s38, -1
	s_waitcnt vmcnt(0)
	v_and_b32_e32 v1, 0xffff, v1
	v_lshlrev_b64 v[3:4], s0, v[1:2]
	s_add_u32 s0, s0, 8
	s_addc_u32 s1, s1, 0
	s_add_u32 s36, s36, 1
	s_addc_u32 s37, s37, 0
	v_or_b32_e32 v23, v3, v23
	s_cmp_lg_u32 s38, 0
	v_or_b32_e32 v24, v4, v24
	s_cbranch_scc1 .LBB0_790
	s_branch .LBB0_793
.LBB0_791:                              ;   in Loop: Header=BB0_739 Depth=2
	s_branch .LBB0_794
.LBB0_792:                              ;   in Loop: Header=BB0_739 Depth=2
	v_mov_b32_e32 v23, 0
	v_mov_b32_e32 v24, 0
.LBB0_793:                              ;   in Loop: Header=BB0_739 Depth=2
	s_cbranch_execnz .LBB0_795
.LBB0_794:                              ;   in Loop: Header=BB0_739 Depth=2
	global_load_dwordx2 v[23:24], v2, s[34:35]
.LBB0_795:                              ;   in Loop: Header=BB0_739 Depth=2
	v_readfirstlane_b32 s0, v31
	v_mov_b32_e32 v3, 0
	v_mov_b32_e32 v4, 0
	v_cmp_eq_u32_e64 s[0:1], s0, v31
	s_and_saveexec_b64 s[34:35], s[0:1]
	s_cbranch_execz .LBB0_801
; %bb.796:                              ;   in Loop: Header=BB0_739 Depth=2
	global_load_dwordx2 v[27:28], v2, s[2:3] offset:24 glc
	s_waitcnt vmcnt(0)
	buffer_wbinvl1_vol
	global_load_dwordx2 v[3:4], v2, s[2:3] offset:40
	global_load_dwordx2 v[25:26], v2, s[2:3]
	s_waitcnt vmcnt(1)
	v_and_b32_e32 v1, v3, v27
	v_and_b32_e32 v3, v4, v28
	v_mul_lo_u32 v3, v3, 24
	v_mul_hi_u32 v4, v1, 24
	v_mul_lo_u32 v1, v1, 24
	v_add_u32_e32 v4, v4, v3
	s_waitcnt vmcnt(0)
	v_add_co_u32_e32 v3, vcc, v25, v1
	v_addc_co_u32_e32 v4, vcc, v26, v4, vcc
	global_load_dwordx2 v[25:26], v[3:4], off glc
	s_waitcnt vmcnt(0)
	global_atomic_cmpswap_x2 v[3:4], v2, v[25:28], s[2:3] offset:24 glc
	s_waitcnt vmcnt(0)
	buffer_wbinvl1_vol
	v_cmp_ne_u64_e32 vcc, v[3:4], v[27:28]
	s_and_saveexec_b64 s[36:37], vcc
	s_cbranch_execz .LBB0_800
; %bb.797:                              ;   in Loop: Header=BB0_739 Depth=2
	s_mov_b64 s[38:39], 0
.LBB0_798:                              ;   Parent Loop BB0_142 Depth=1
                                        ;     Parent Loop BB0_739 Depth=2
                                        ; =>    This Inner Loop Header: Depth=3
	s_sleep 1
	global_load_dwordx2 v[25:26], v2, s[2:3] offset:40
	global_load_dwordx2 v[29:30], v2, s[2:3]
	v_mov_b32_e32 v28, v4
	v_mov_b32_e32 v27, v3
	s_waitcnt vmcnt(1)
	v_and_b32_e32 v1, v25, v27
	s_waitcnt vmcnt(0)
	v_mad_u64_u32 v[3:4], s[40:41], v1, 24, v[29:30]
	v_and_b32_e32 v25, v26, v28
	v_mov_b32_e32 v1, v4
	v_mad_u64_u32 v[25:26], s[40:41], v25, 24, v[1:2]
	v_mov_b32_e32 v4, v25
	global_load_dwordx2 v[25:26], v[3:4], off glc
	s_waitcnt vmcnt(0)
	global_atomic_cmpswap_x2 v[3:4], v2, v[25:28], s[2:3] offset:24 glc
	s_waitcnt vmcnt(0)
	buffer_wbinvl1_vol
	v_cmp_eq_u64_e32 vcc, v[3:4], v[27:28]
	s_or_b64 s[38:39], vcc, s[38:39]
	s_andn2_b64 exec, exec, s[38:39]
	s_cbranch_execnz .LBB0_798
; %bb.799:                              ;   in Loop: Header=BB0_739 Depth=2
	s_or_b64 exec, exec, s[38:39]
.LBB0_800:                              ;   in Loop: Header=BB0_739 Depth=2
	s_or_b64 exec, exec, s[36:37]
.LBB0_801:                              ;   in Loop: Header=BB0_739 Depth=2
	s_or_b64 exec, exec, s[34:35]
	global_load_dwordx2 v[29:30], v2, s[2:3] offset:40
	global_load_dwordx4 v[25:28], v2, s[2:3]
	v_readfirstlane_b32 s35, v4
	v_readfirstlane_b32 s34, v3
	s_mov_b64 s[36:37], exec
	s_waitcnt vmcnt(1)
	v_readfirstlane_b32 s38, v29
	v_readfirstlane_b32 s39, v30
	s_and_b64 s[38:39], s[38:39], s[34:35]
	s_mul_i32 s33, s39, 24
	s_mul_hi_u32 s40, s38, 24
	s_mul_i32 s41, s38, 24
	s_add_i32 s33, s40, s33
	v_mov_b32_e32 v1, s33
	s_waitcnt vmcnt(0)
	v_add_co_u32_e32 v29, vcc, s41, v25
	v_addc_co_u32_e32 v30, vcc, v26, v1, vcc
	s_and_saveexec_b64 s[40:41], s[0:1]
	s_cbranch_execz .LBB0_803
; %bb.802:                              ;   in Loop: Header=BB0_739 Depth=2
	v_mov_b32_e32 v3, s36
	v_mov_b32_e32 v4, s37
	global_store_dwordx4 v[29:30], v[3:6], off offset:8
.LBB0_803:                              ;   in Loop: Header=BB0_739 Depth=2
	s_or_b64 exec, exec, s[40:41]
	s_lshl_b64 s[36:37], s[38:39], 12
	v_mov_b32_e32 v1, s37
	v_add_co_u32_e32 v27, vcc, s36, v27
	v_addc_co_u32_e32 v28, vcc, v28, v1, vcc
	v_cmp_lt_u64_e64 vcc, s[28:29], 57
	v_and_b32_e32 v1, 2, v7
	s_lshl_b32 s33, s30, 2
	v_cndmask_b32_e32 v1, 0, v1, vcc
	s_add_i32 s33, s33, 28
	v_and_b32_e32 v3, 0xffffff1f, v9
	s_and_b32 s33, s33, 0x1e0
	v_or_b32_e32 v1, v3, v1
	v_or_b32_e32 v9, s33, v1
	v_readfirstlane_b32 s36, v27
	v_readfirstlane_b32 s37, v28
	s_nop 4
	global_store_dwordx4 v32, v[9:12], s[36:37]
	global_store_dwordx4 v32, v[13:16], s[36:37] offset:16
	global_store_dwordx4 v32, v[17:20], s[36:37] offset:32
	;; [unrolled: 1-line block ×3, first 2 shown]
	s_and_saveexec_b64 s[36:37], s[0:1]
	s_cbranch_execz .LBB0_811
; %bb.804:                              ;   in Loop: Header=BB0_739 Depth=2
	global_load_dwordx2 v[13:14], v2, s[2:3] offset:32 glc
	global_load_dwordx2 v[3:4], v2, s[2:3] offset:40
	v_mov_b32_e32 v11, s34
	v_mov_b32_e32 v12, s35
	s_waitcnt vmcnt(0)
	v_readfirstlane_b32 s38, v3
	v_readfirstlane_b32 s39, v4
	s_and_b64 s[38:39], s[38:39], s[34:35]
	s_mul_i32 s33, s39, 24
	s_mul_hi_u32 s39, s38, 24
	s_mul_i32 s38, s38, 24
	s_add_i32 s33, s39, s33
	v_mov_b32_e32 v1, s33
	v_add_co_u32_e32 v3, vcc, s38, v25
	v_addc_co_u32_e32 v4, vcc, v26, v1, vcc
	global_store_dwordx2 v[3:4], v[13:14], off
	s_waitcnt vmcnt(0)
	global_atomic_cmpswap_x2 v[11:12], v2, v[11:14], s[2:3] offset:32 glc
	s_waitcnt vmcnt(0)
	v_cmp_ne_u64_e32 vcc, v[11:12], v[13:14]
	s_and_saveexec_b64 s[38:39], vcc
	s_cbranch_execz .LBB0_807
; %bb.805:                              ;   in Loop: Header=BB0_739 Depth=2
	s_mov_b64 s[40:41], 0
.LBB0_806:                              ;   Parent Loop BB0_142 Depth=1
                                        ;     Parent Loop BB0_739 Depth=2
                                        ; =>    This Inner Loop Header: Depth=3
	s_sleep 1
	global_store_dwordx2 v[3:4], v[11:12], off
	v_mov_b32_e32 v9, s34
	v_mov_b32_e32 v10, s35
	s_waitcnt vmcnt(0)
	global_atomic_cmpswap_x2 v[9:10], v2, v[9:12], s[2:3] offset:32 glc
	s_waitcnt vmcnt(0)
	v_cmp_eq_u64_e32 vcc, v[9:10], v[11:12]
	v_mov_b32_e32 v12, v10
	s_or_b64 s[40:41], vcc, s[40:41]
	v_mov_b32_e32 v11, v9
	s_andn2_b64 exec, exec, s[40:41]
	s_cbranch_execnz .LBB0_806
.LBB0_807:                              ;   in Loop: Header=BB0_739 Depth=2
	s_or_b64 exec, exec, s[38:39]
	global_load_dwordx2 v[3:4], v2, s[2:3] offset:16
	s_mov_b64 s[40:41], exec
	v_mbcnt_lo_u32_b32 v1, s40, 0
	v_mbcnt_hi_u32_b32 v1, s41, v1
	v_cmp_eq_u32_e32 vcc, 0, v1
	s_and_saveexec_b64 s[38:39], vcc
	s_cbranch_execz .LBB0_809
; %bb.808:                              ;   in Loop: Header=BB0_739 Depth=2
	s_bcnt1_i32_b64 s33, s[40:41]
	v_mov_b32_e32 v1, s33
	s_waitcnt vmcnt(0)
	global_atomic_add_x2 v[3:4], v[1:2], off offset:8
.LBB0_809:                              ;   in Loop: Header=BB0_739 Depth=2
	s_or_b64 exec, exec, s[38:39]
	s_waitcnt vmcnt(0)
	global_load_dwordx2 v[9:10], v[3:4], off offset:16
	s_waitcnt vmcnt(0)
	v_cmp_eq_u64_e32 vcc, 0, v[9:10]
	s_cbranch_vccnz .LBB0_811
; %bb.810:                              ;   in Loop: Header=BB0_739 Depth=2
	global_load_dword v1, v[3:4], off offset:24
	s_waitcnt vmcnt(0)
	v_readfirstlane_b32 s33, v1
	s_and_b32 m0, s33, 0xffffff
	global_store_dwordx2 v[9:10], v[1:2], off
	s_sendmsg sendmsg(MSG_INTERRUPT)
.LBB0_811:                              ;   in Loop: Header=BB0_739 Depth=2
	s_or_b64 exec, exec, s[36:37]
	v_add_co_u32_e32 v3, vcc, v27, v32
	v_addc_co_u32_e32 v4, vcc, 0, v28, vcc
	s_branch .LBB0_815
.LBB0_812:                              ;   in Loop: Header=BB0_815 Depth=3
	s_or_b64 exec, exec, s[36:37]
	v_readfirstlane_b32 s33, v1
	s_cmp_eq_u32 s33, 0
	s_cbranch_scc1 .LBB0_814
; %bb.813:                              ;   in Loop: Header=BB0_815 Depth=3
	s_sleep 1
	s_cbranch_execnz .LBB0_815
	s_branch .LBB0_817
.LBB0_814:                              ;   in Loop: Header=BB0_739 Depth=2
	s_branch .LBB0_817
.LBB0_815:                              ;   Parent Loop BB0_142 Depth=1
                                        ;     Parent Loop BB0_739 Depth=2
                                        ; =>    This Inner Loop Header: Depth=3
	v_mov_b32_e32 v1, 1
	s_and_saveexec_b64 s[36:37], s[0:1]
	s_cbranch_execz .LBB0_812
; %bb.816:                              ;   in Loop: Header=BB0_815 Depth=3
	global_load_dword v1, v[29:30], off offset:20 glc
	s_waitcnt vmcnt(0)
	buffer_wbinvl1_vol
	v_and_b32_e32 v1, 1, v1
	s_branch .LBB0_812
.LBB0_817:                              ;   in Loop: Header=BB0_739 Depth=2
	global_load_dwordx2 v[9:10], v[3:4], off
	s_and_saveexec_b64 s[36:37], s[0:1]
	s_cbranch_execz .LBB0_738
; %bb.818:                              ;   in Loop: Header=BB0_739 Depth=2
	global_load_dwordx2 v[3:4], v2, s[2:3] offset:40
	global_load_dwordx2 v[15:16], v2, s[2:3] offset:24 glc
	global_load_dwordx2 v[11:12], v2, s[2:3]
	s_waitcnt vmcnt(2)
	v_readfirstlane_b32 s38, v3
	v_readfirstlane_b32 s39, v4
	s_add_u32 s33, s38, 1
	s_addc_u32 s40, s39, 0
	s_add_u32 s0, s33, s34
	s_addc_u32 s1, s40, s35
	s_cmp_eq_u64 s[0:1], 0
	s_cselect_b32 s1, s40, s1
	s_cselect_b32 s0, s33, s0
	s_and_b64 s[34:35], s[0:1], s[38:39]
	s_mul_i32 s33, s35, 24
	s_mul_hi_u32 s35, s34, 24
	s_mul_i32 s34, s34, 24
	s_add_i32 s33, s35, s33
	v_mov_b32_e32 v1, s33
	s_waitcnt vmcnt(0)
	v_add_co_u32_e32 v3, vcc, s34, v11
	v_addc_co_u32_e32 v4, vcc, v12, v1, vcc
	v_mov_b32_e32 v13, s0
	global_store_dwordx2 v[3:4], v[15:16], off
	v_mov_b32_e32 v14, s1
	s_waitcnt vmcnt(0)
	global_atomic_cmpswap_x2 v[13:14], v2, v[13:16], s[2:3] offset:24 glc
	s_waitcnt vmcnt(0)
	v_cmp_ne_u64_e32 vcc, v[13:14], v[15:16]
	s_and_b64 exec, exec, vcc
	s_cbranch_execz .LBB0_738
; %bb.819:                              ;   in Loop: Header=BB0_739 Depth=2
	s_mov_b64 s[34:35], 0
.LBB0_820:                              ;   Parent Loop BB0_142 Depth=1
                                        ;     Parent Loop BB0_739 Depth=2
                                        ; =>    This Inner Loop Header: Depth=3
	s_sleep 1
	global_store_dwordx2 v[3:4], v[13:14], off
	v_mov_b32_e32 v11, s0
	v_mov_b32_e32 v12, s1
	s_waitcnt vmcnt(0)
	global_atomic_cmpswap_x2 v[11:12], v2, v[11:14], s[2:3] offset:24 glc
	s_waitcnt vmcnt(0)
	v_cmp_eq_u64_e32 vcc, v[11:12], v[13:14]
	v_mov_b32_e32 v14, v12
	s_or_b64 s[34:35], vcc, s[34:35]
	v_mov_b32_e32 v13, v11
	s_andn2_b64 exec, exec, s[34:35]
	s_cbranch_execnz .LBB0_820
	s_branch .LBB0_738
.LBB0_821:                              ;   in Loop: Header=BB0_142 Depth=1
	s_branch .LBB0_850
.LBB0_822:                              ;   in Loop: Header=BB0_142 Depth=1
                                        ; implicit-def: $vgpr9_vgpr10
	s_cbranch_execz .LBB0_850
; %bb.823:                              ;   in Loop: Header=BB0_142 Depth=1
	v_readfirstlane_b32 s0, v31
	v_mov_b32_e32 v3, 0
	v_mov_b32_e32 v4, 0
	v_cmp_eq_u32_e64 s[0:1], s0, v31
	s_and_saveexec_b64 s[26:27], s[0:1]
	s_cbranch_execz .LBB0_829
; %bb.824:                              ;   in Loop: Header=BB0_142 Depth=1
	global_load_dwordx2 v[11:12], v2, s[2:3] offset:24 glc
	s_waitcnt vmcnt(0)
	buffer_wbinvl1_vol
	global_load_dwordx2 v[3:4], v2, s[2:3] offset:40
	global_load_dwordx2 v[9:10], v2, s[2:3]
	s_waitcnt vmcnt(1)
	v_and_b32_e32 v1, v3, v11
	v_and_b32_e32 v3, v4, v12
	v_mul_lo_u32 v3, v3, 24
	v_mul_hi_u32 v4, v1, 24
	v_mul_lo_u32 v1, v1, 24
	v_add_u32_e32 v4, v4, v3
	s_waitcnt vmcnt(0)
	v_add_co_u32_e32 v3, vcc, v9, v1
	v_addc_co_u32_e32 v4, vcc, v10, v4, vcc
	global_load_dwordx2 v[9:10], v[3:4], off glc
	s_waitcnt vmcnt(0)
	global_atomic_cmpswap_x2 v[3:4], v2, v[9:12], s[2:3] offset:24 glc
	s_waitcnt vmcnt(0)
	buffer_wbinvl1_vol
	v_cmp_ne_u64_e32 vcc, v[3:4], v[11:12]
	s_and_saveexec_b64 s[28:29], vcc
	s_cbranch_execz .LBB0_828
; %bb.825:                              ;   in Loop: Header=BB0_142 Depth=1
	s_mov_b64 s[30:31], 0
.LBB0_826:                              ;   Parent Loop BB0_142 Depth=1
                                        ; =>  This Inner Loop Header: Depth=2
	s_sleep 1
	global_load_dwordx2 v[9:10], v2, s[2:3] offset:40
	global_load_dwordx2 v[13:14], v2, s[2:3]
	v_mov_b32_e32 v12, v4
	v_mov_b32_e32 v11, v3
	s_waitcnt vmcnt(1)
	v_and_b32_e32 v1, v9, v11
	s_waitcnt vmcnt(0)
	v_mad_u64_u32 v[3:4], s[34:35], v1, 24, v[13:14]
	v_and_b32_e32 v9, v10, v12
	v_mov_b32_e32 v1, v4
	v_mad_u64_u32 v[9:10], s[34:35], v9, 24, v[1:2]
	v_mov_b32_e32 v4, v9
	global_load_dwordx2 v[9:10], v[3:4], off glc
	s_waitcnt vmcnt(0)
	global_atomic_cmpswap_x2 v[3:4], v2, v[9:12], s[2:3] offset:24 glc
	s_waitcnt vmcnt(0)
	buffer_wbinvl1_vol
	v_cmp_eq_u64_e32 vcc, v[3:4], v[11:12]
	s_or_b64 s[30:31], vcc, s[30:31]
	s_andn2_b64 exec, exec, s[30:31]
	s_cbranch_execnz .LBB0_826
; %bb.827:                              ;   in Loop: Header=BB0_142 Depth=1
	s_or_b64 exec, exec, s[30:31]
.LBB0_828:                              ;   in Loop: Header=BB0_142 Depth=1
	s_or_b64 exec, exec, s[28:29]
.LBB0_829:                              ;   in Loop: Header=BB0_142 Depth=1
	s_or_b64 exec, exec, s[26:27]
	global_load_dwordx2 v[9:10], v2, s[2:3] offset:40
	global_load_dwordx4 v[11:14], v2, s[2:3]
	v_readfirstlane_b32 s27, v4
	v_readfirstlane_b32 s26, v3
	s_mov_b64 s[28:29], exec
	s_waitcnt vmcnt(1)
	v_readfirstlane_b32 s30, v9
	v_readfirstlane_b32 s31, v10
	s_and_b64 s[30:31], s[30:31], s[26:27]
	s_mul_i32 s33, s31, 24
	s_mul_hi_u32 s34, s30, 24
	s_mul_i32 s35, s30, 24
	s_add_i32 s33, s34, s33
	v_mov_b32_e32 v1, s33
	s_waitcnt vmcnt(0)
	v_add_co_u32_e32 v15, vcc, s35, v11
	v_addc_co_u32_e32 v16, vcc, v12, v1, vcc
	s_and_saveexec_b64 s[34:35], s[0:1]
	s_cbranch_execz .LBB0_831
; %bb.830:                              ;   in Loop: Header=BB0_142 Depth=1
	v_mov_b32_e32 v3, s28
	v_mov_b32_e32 v4, s29
	global_store_dwordx4 v[15:16], v[3:6], off offset:8
.LBB0_831:                              ;   in Loop: Header=BB0_142 Depth=1
	s_or_b64 exec, exec, s[34:35]
	s_lshl_b64 s[28:29], s[30:31], 12
	v_mov_b32_e32 v1, s29
	v_add_co_u32_e32 v13, vcc, s28, v13
	v_addc_co_u32_e32 v14, vcc, v14, v1, vcc
	v_and_or_b32 v7, v7, s8, 32
	v_mov_b32_e32 v9, v2
	v_mov_b32_e32 v10, v2
	v_readfirstlane_b32 s28, v13
	v_readfirstlane_b32 s29, v14
	s_nop 4
	global_store_dwordx4 v32, v[7:10], s[28:29]
	s_nop 0
	v_mov_b32_e32 v10, s7
	v_mov_b32_e32 v9, s6
	;; [unrolled: 1-line block ×4, first 2 shown]
	global_store_dwordx4 v32, v[7:10], s[28:29] offset:16
	global_store_dwordx4 v32, v[7:10], s[28:29] offset:32
	;; [unrolled: 1-line block ×3, first 2 shown]
	s_and_saveexec_b64 s[28:29], s[0:1]
	s_cbranch_execz .LBB0_839
; %bb.832:                              ;   in Loop: Header=BB0_142 Depth=1
	global_load_dwordx2 v[19:20], v2, s[2:3] offset:32 glc
	global_load_dwordx2 v[3:4], v2, s[2:3] offset:40
	v_mov_b32_e32 v17, s26
	v_mov_b32_e32 v18, s27
	s_waitcnt vmcnt(0)
	v_readfirstlane_b32 s30, v3
	v_readfirstlane_b32 s31, v4
	s_and_b64 s[30:31], s[30:31], s[26:27]
	s_mul_i32 s31, s31, 24
	s_mul_hi_u32 s33, s30, 24
	s_mul_i32 s30, s30, 24
	s_add_i32 s31, s33, s31
	v_mov_b32_e32 v1, s31
	v_add_co_u32_e32 v3, vcc, s30, v11
	v_addc_co_u32_e32 v4, vcc, v12, v1, vcc
	global_store_dwordx2 v[3:4], v[19:20], off
	s_waitcnt vmcnt(0)
	global_atomic_cmpswap_x2 v[9:10], v2, v[17:20], s[2:3] offset:32 glc
	s_waitcnt vmcnt(0)
	v_cmp_ne_u64_e32 vcc, v[9:10], v[19:20]
	s_and_saveexec_b64 s[30:31], vcc
	s_cbranch_execz .LBB0_835
; %bb.833:                              ;   in Loop: Header=BB0_142 Depth=1
	s_mov_b64 s[34:35], 0
.LBB0_834:                              ;   Parent Loop BB0_142 Depth=1
                                        ; =>  This Inner Loop Header: Depth=2
	s_sleep 1
	global_store_dwordx2 v[3:4], v[9:10], off
	v_mov_b32_e32 v7, s26
	v_mov_b32_e32 v8, s27
	s_waitcnt vmcnt(0)
	global_atomic_cmpswap_x2 v[7:8], v2, v[7:10], s[2:3] offset:32 glc
	s_waitcnt vmcnt(0)
	v_cmp_eq_u64_e32 vcc, v[7:8], v[9:10]
	v_mov_b32_e32 v10, v8
	s_or_b64 s[34:35], vcc, s[34:35]
	v_mov_b32_e32 v9, v7
	s_andn2_b64 exec, exec, s[34:35]
	s_cbranch_execnz .LBB0_834
.LBB0_835:                              ;   in Loop: Header=BB0_142 Depth=1
	s_or_b64 exec, exec, s[30:31]
	global_load_dwordx2 v[3:4], v2, s[2:3] offset:16
	s_mov_b64 s[34:35], exec
	v_mbcnt_lo_u32_b32 v1, s34, 0
	v_mbcnt_hi_u32_b32 v1, s35, v1
	v_cmp_eq_u32_e32 vcc, 0, v1
	s_and_saveexec_b64 s[30:31], vcc
	s_cbranch_execz .LBB0_837
; %bb.836:                              ;   in Loop: Header=BB0_142 Depth=1
	s_bcnt1_i32_b64 s33, s[34:35]
	v_mov_b32_e32 v1, s33
	s_waitcnt vmcnt(0)
	global_atomic_add_x2 v[3:4], v[1:2], off offset:8
.LBB0_837:                              ;   in Loop: Header=BB0_142 Depth=1
	s_or_b64 exec, exec, s[30:31]
	s_waitcnt vmcnt(0)
	global_load_dwordx2 v[7:8], v[3:4], off offset:16
	s_waitcnt vmcnt(0)
	v_cmp_eq_u64_e32 vcc, 0, v[7:8]
	s_cbranch_vccnz .LBB0_839
; %bb.838:                              ;   in Loop: Header=BB0_142 Depth=1
	global_load_dword v1, v[3:4], off offset:24
	s_waitcnt vmcnt(0)
	v_readfirstlane_b32 s30, v1
	s_and_b32 m0, s30, 0xffffff
	global_store_dwordx2 v[7:8], v[1:2], off
	s_sendmsg sendmsg(MSG_INTERRUPT)
.LBB0_839:                              ;   in Loop: Header=BB0_142 Depth=1
	s_or_b64 exec, exec, s[28:29]
	v_add_co_u32_e32 v3, vcc, v13, v32
	v_addc_co_u32_e32 v4, vcc, 0, v14, vcc
	s_branch .LBB0_843
.LBB0_840:                              ;   in Loop: Header=BB0_843 Depth=2
	s_or_b64 exec, exec, s[28:29]
	v_readfirstlane_b32 s28, v1
	s_cmp_eq_u32 s28, 0
	s_cbranch_scc1 .LBB0_842
; %bb.841:                              ;   in Loop: Header=BB0_843 Depth=2
	s_sleep 1
	s_cbranch_execnz .LBB0_843
	s_branch .LBB0_845
.LBB0_842:                              ;   in Loop: Header=BB0_142 Depth=1
	s_branch .LBB0_845
.LBB0_843:                              ;   Parent Loop BB0_142 Depth=1
                                        ; =>  This Inner Loop Header: Depth=2
	v_mov_b32_e32 v1, 1
	s_and_saveexec_b64 s[28:29], s[0:1]
	s_cbranch_execz .LBB0_840
; %bb.844:                              ;   in Loop: Header=BB0_843 Depth=2
	global_load_dword v1, v[15:16], off offset:20 glc
	s_waitcnt vmcnt(0)
	buffer_wbinvl1_vol
	v_and_b32_e32 v1, 1, v1
	s_branch .LBB0_840
.LBB0_845:                              ;   in Loop: Header=BB0_142 Depth=1
	global_load_dwordx2 v[9:10], v[3:4], off
	s_and_saveexec_b64 s[28:29], s[0:1]
	s_cbranch_execz .LBB0_849
; %bb.846:                              ;   in Loop: Header=BB0_142 Depth=1
	global_load_dwordx2 v[3:4], v2, s[2:3] offset:40
	global_load_dwordx2 v[15:16], v2, s[2:3] offset:24 glc
	global_load_dwordx2 v[7:8], v2, s[2:3]
	s_waitcnt vmcnt(2)
	v_readfirstlane_b32 s30, v3
	v_readfirstlane_b32 s31, v4
	s_add_u32 s33, s30, 1
	s_addc_u32 s34, s31, 0
	s_add_u32 s0, s33, s26
	s_addc_u32 s1, s34, s27
	s_cmp_eq_u64 s[0:1], 0
	s_cselect_b32 s1, s34, s1
	s_cselect_b32 s0, s33, s0
	s_and_b64 s[26:27], s[0:1], s[30:31]
	s_mul_i32 s27, s27, 24
	s_mul_hi_u32 s30, s26, 24
	s_mul_i32 s26, s26, 24
	s_add_i32 s27, s30, s27
	v_mov_b32_e32 v1, s27
	s_waitcnt vmcnt(0)
	v_add_co_u32_e32 v3, vcc, s26, v7
	v_addc_co_u32_e32 v4, vcc, v8, v1, vcc
	v_mov_b32_e32 v13, s0
	global_store_dwordx2 v[3:4], v[15:16], off
	v_mov_b32_e32 v14, s1
	s_waitcnt vmcnt(0)
	global_atomic_cmpswap_x2 v[13:14], v2, v[13:16], s[2:3] offset:24 glc
	s_waitcnt vmcnt(0)
	v_cmp_ne_u64_e32 vcc, v[13:14], v[15:16]
	s_and_b64 exec, exec, vcc
	s_cbranch_execz .LBB0_849
; %bb.847:                              ;   in Loop: Header=BB0_142 Depth=1
	s_mov_b64 s[26:27], 0
.LBB0_848:                              ;   Parent Loop BB0_142 Depth=1
                                        ; =>  This Inner Loop Header: Depth=2
	s_sleep 1
	global_store_dwordx2 v[3:4], v[13:14], off
	v_mov_b32_e32 v11, s0
	v_mov_b32_e32 v12, s1
	s_waitcnt vmcnt(0)
	global_atomic_cmpswap_x2 v[7:8], v2, v[11:14], s[2:3] offset:24 glc
	s_waitcnt vmcnt(0)
	v_cmp_eq_u64_e32 vcc, v[7:8], v[13:14]
	v_mov_b32_e32 v14, v8
	s_or_b64 s[26:27], vcc, s[26:27]
	v_mov_b32_e32 v13, v7
	s_andn2_b64 exec, exec, s[26:27]
	s_cbranch_execnz .LBB0_848
.LBB0_849:                              ;   in Loop: Header=BB0_142 Depth=1
	s_or_b64 exec, exec, s[28:29]
.LBB0_850:                              ;   in Loop: Header=BB0_142 Depth=1
	v_readfirstlane_b32 s0, v31
	v_mov_b32_e32 v3, 0
	v_mov_b32_e32 v4, 0
	v_cmp_eq_u32_e64 s[0:1], s0, v31
	s_and_saveexec_b64 s[26:27], s[0:1]
	s_cbranch_execz .LBB0_856
; %bb.851:                              ;   in Loop: Header=BB0_142 Depth=1
	global_load_dwordx2 v[13:14], v2, s[2:3] offset:24 glc
	s_waitcnt vmcnt(0)
	buffer_wbinvl1_vol
	global_load_dwordx2 v[3:4], v2, s[2:3] offset:40
	global_load_dwordx2 v[7:8], v2, s[2:3]
	s_waitcnt vmcnt(1)
	v_and_b32_e32 v1, v3, v13
	v_and_b32_e32 v3, v4, v14
	v_mul_lo_u32 v3, v3, 24
	v_mul_hi_u32 v4, v1, 24
	v_mul_lo_u32 v1, v1, 24
	v_add_u32_e32 v4, v4, v3
	s_waitcnt vmcnt(0)
	v_add_co_u32_e32 v3, vcc, v7, v1
	v_addc_co_u32_e32 v4, vcc, v8, v4, vcc
	global_load_dwordx2 v[11:12], v[3:4], off glc
	s_waitcnt vmcnt(0)
	global_atomic_cmpswap_x2 v[3:4], v2, v[11:14], s[2:3] offset:24 glc
	s_waitcnt vmcnt(0)
	buffer_wbinvl1_vol
	v_cmp_ne_u64_e32 vcc, v[3:4], v[13:14]
	s_and_saveexec_b64 s[28:29], vcc
	s_cbranch_execz .LBB0_855
; %bb.852:                              ;   in Loop: Header=BB0_142 Depth=1
	s_mov_b64 s[30:31], 0
.LBB0_853:                              ;   Parent Loop BB0_142 Depth=1
                                        ; =>  This Inner Loop Header: Depth=2
	s_sleep 1
	global_load_dwordx2 v[7:8], v2, s[2:3] offset:40
	global_load_dwordx2 v[11:12], v2, s[2:3]
	v_mov_b32_e32 v14, v4
	v_mov_b32_e32 v13, v3
	s_waitcnt vmcnt(1)
	v_and_b32_e32 v1, v7, v13
	s_waitcnt vmcnt(0)
	v_mad_u64_u32 v[3:4], s[34:35], v1, 24, v[11:12]
	v_and_b32_e32 v7, v8, v14
	v_mov_b32_e32 v1, v4
	v_mad_u64_u32 v[7:8], s[34:35], v7, 24, v[1:2]
	v_mov_b32_e32 v4, v7
	global_load_dwordx2 v[11:12], v[3:4], off glc
	s_waitcnt vmcnt(0)
	global_atomic_cmpswap_x2 v[3:4], v2, v[11:14], s[2:3] offset:24 glc
	s_waitcnt vmcnt(0)
	buffer_wbinvl1_vol
	v_cmp_eq_u64_e32 vcc, v[3:4], v[13:14]
	s_or_b64 s[30:31], vcc, s[30:31]
	s_andn2_b64 exec, exec, s[30:31]
	s_cbranch_execnz .LBB0_853
; %bb.854:                              ;   in Loop: Header=BB0_142 Depth=1
	s_or_b64 exec, exec, s[30:31]
.LBB0_855:                              ;   in Loop: Header=BB0_142 Depth=1
	s_or_b64 exec, exec, s[28:29]
.LBB0_856:                              ;   in Loop: Header=BB0_142 Depth=1
	s_or_b64 exec, exec, s[26:27]
	global_load_dwordx2 v[7:8], v2, s[2:3] offset:40
	global_load_dwordx4 v[13:16], v2, s[2:3]
	v_readfirstlane_b32 s27, v4
	v_readfirstlane_b32 s26, v3
	s_mov_b64 s[28:29], exec
	s_waitcnt vmcnt(1)
	v_readfirstlane_b32 s30, v7
	v_readfirstlane_b32 s31, v8
	s_and_b64 s[30:31], s[30:31], s[26:27]
	s_mul_i32 s33, s31, 24
	s_mul_hi_u32 s34, s30, 24
	s_mul_i32 s35, s30, 24
	s_add_i32 s33, s34, s33
	v_mov_b32_e32 v1, s33
	s_waitcnt vmcnt(0)
	v_add_co_u32_e32 v17, vcc, s35, v13
	v_addc_co_u32_e32 v18, vcc, v14, v1, vcc
	s_and_saveexec_b64 s[34:35], s[0:1]
	s_cbranch_execz .LBB0_858
; %bb.857:                              ;   in Loop: Header=BB0_142 Depth=1
	v_mov_b32_e32 v3, s28
	v_mov_b32_e32 v4, s29
	global_store_dwordx4 v[17:18], v[3:6], off offset:8
.LBB0_858:                              ;   in Loop: Header=BB0_142 Depth=1
	s_or_b64 exec, exec, s[34:35]
	s_lshl_b64 s[28:29], s[30:31], 12
	v_mov_b32_e32 v1, s29
	v_add_co_u32_e32 v3, vcc, s28, v15
	v_addc_co_u32_e32 v1, vcc, v16, v1, vcc
	s_ashr_i32 s19, s19, 1
	v_and_or_b32 v9, v9, s11, 34
	v_mov_b32_e32 v11, s19
	v_mov_b32_e32 v12, v2
	v_readfirstlane_b32 s28, v3
	v_readfirstlane_b32 s29, v1
	s_nop 4
	global_store_dwordx4 v32, v[9:12], s[28:29]
	s_nop 0
	v_mov_b32_e32 v10, s7
	v_mov_b32_e32 v9, s6
	;; [unrolled: 1-line block ×4, first 2 shown]
	global_store_dwordx4 v32, v[7:10], s[28:29] offset:16
	global_store_dwordx4 v32, v[7:10], s[28:29] offset:32
	;; [unrolled: 1-line block ×3, first 2 shown]
	s_and_saveexec_b64 s[28:29], s[0:1]
	s_cbranch_execz .LBB0_866
; %bb.859:                              ;   in Loop: Header=BB0_142 Depth=1
	global_load_dwordx2 v[11:12], v2, s[2:3] offset:32 glc
	global_load_dwordx2 v[3:4], v2, s[2:3] offset:40
	v_mov_b32_e32 v9, s26
	v_mov_b32_e32 v10, s27
	s_waitcnt vmcnt(0)
	v_readfirstlane_b32 s30, v3
	v_readfirstlane_b32 s31, v4
	s_and_b64 s[30:31], s[30:31], s[26:27]
	s_mul_i32 s19, s31, 24
	s_mul_hi_u32 s31, s30, 24
	s_mul_i32 s30, s30, 24
	s_add_i32 s19, s31, s19
	v_mov_b32_e32 v1, s19
	v_add_co_u32_e32 v3, vcc, s30, v13
	v_addc_co_u32_e32 v4, vcc, v14, v1, vcc
	global_store_dwordx2 v[3:4], v[11:12], off
	s_waitcnt vmcnt(0)
	global_atomic_cmpswap_x2 v[9:10], v2, v[9:12], s[2:3] offset:32 glc
	s_waitcnt vmcnt(0)
	v_cmp_ne_u64_e32 vcc, v[9:10], v[11:12]
	s_and_saveexec_b64 s[30:31], vcc
	s_cbranch_execz .LBB0_862
; %bb.860:                              ;   in Loop: Header=BB0_142 Depth=1
	s_mov_b64 s[34:35], 0
.LBB0_861:                              ;   Parent Loop BB0_142 Depth=1
                                        ; =>  This Inner Loop Header: Depth=2
	s_sleep 1
	global_store_dwordx2 v[3:4], v[9:10], off
	v_mov_b32_e32 v7, s26
	v_mov_b32_e32 v8, s27
	s_waitcnt vmcnt(0)
	global_atomic_cmpswap_x2 v[7:8], v2, v[7:10], s[2:3] offset:32 glc
	s_waitcnt vmcnt(0)
	v_cmp_eq_u64_e32 vcc, v[7:8], v[9:10]
	v_mov_b32_e32 v10, v8
	s_or_b64 s[34:35], vcc, s[34:35]
	v_mov_b32_e32 v9, v7
	s_andn2_b64 exec, exec, s[34:35]
	s_cbranch_execnz .LBB0_861
.LBB0_862:                              ;   in Loop: Header=BB0_142 Depth=1
	s_or_b64 exec, exec, s[30:31]
	global_load_dwordx2 v[3:4], v2, s[2:3] offset:16
	s_mov_b64 s[34:35], exec
	v_mbcnt_lo_u32_b32 v1, s34, 0
	v_mbcnt_hi_u32_b32 v1, s35, v1
	v_cmp_eq_u32_e32 vcc, 0, v1
	s_and_saveexec_b64 s[30:31], vcc
	s_cbranch_execz .LBB0_864
; %bb.863:                              ;   in Loop: Header=BB0_142 Depth=1
	s_bcnt1_i32_b64 s19, s[34:35]
	v_mov_b32_e32 v1, s19
	s_waitcnt vmcnt(0)
	global_atomic_add_x2 v[3:4], v[1:2], off offset:8
.LBB0_864:                              ;   in Loop: Header=BB0_142 Depth=1
	s_or_b64 exec, exec, s[30:31]
	s_waitcnt vmcnt(0)
	global_load_dwordx2 v[7:8], v[3:4], off offset:16
	s_waitcnt vmcnt(0)
	v_cmp_eq_u64_e32 vcc, 0, v[7:8]
	s_cbranch_vccnz .LBB0_866
; %bb.865:                              ;   in Loop: Header=BB0_142 Depth=1
	global_load_dword v1, v[3:4], off offset:24
	s_waitcnt vmcnt(0)
	v_readfirstlane_b32 s19, v1
	s_and_b32 m0, s19, 0xffffff
	global_store_dwordx2 v[7:8], v[1:2], off
	s_sendmsg sendmsg(MSG_INTERRUPT)
.LBB0_866:                              ;   in Loop: Header=BB0_142 Depth=1
	s_or_b64 exec, exec, s[28:29]
	s_branch .LBB0_870
.LBB0_867:                              ;   in Loop: Header=BB0_870 Depth=2
	s_or_b64 exec, exec, s[28:29]
	v_readfirstlane_b32 s19, v1
	s_cmp_eq_u32 s19, 0
	s_cbranch_scc1 .LBB0_869
; %bb.868:                              ;   in Loop: Header=BB0_870 Depth=2
	s_sleep 1
	s_cbranch_execnz .LBB0_870
	s_branch .LBB0_872
.LBB0_869:                              ;   in Loop: Header=BB0_142 Depth=1
	s_branch .LBB0_872
.LBB0_870:                              ;   Parent Loop BB0_142 Depth=1
                                        ; =>  This Inner Loop Header: Depth=2
	v_mov_b32_e32 v1, 1
	s_and_saveexec_b64 s[28:29], s[0:1]
	s_cbranch_execz .LBB0_867
; %bb.871:                              ;   in Loop: Header=BB0_870 Depth=2
	global_load_dword v1, v[17:18], off offset:20 glc
	s_waitcnt vmcnt(0)
	buffer_wbinvl1_vol
	v_and_b32_e32 v1, 1, v1
	s_branch .LBB0_867
.LBB0_872:                              ;   in Loop: Header=BB0_142 Depth=1
	s_and_saveexec_b64 s[28:29], s[0:1]
	s_cbranch_execz .LBB0_141
; %bb.873:                              ;   in Loop: Header=BB0_142 Depth=1
	global_load_dwordx2 v[3:4], v2, s[2:3] offset:40
	global_load_dwordx2 v[11:12], v2, s[2:3] offset:24 glc
	global_load_dwordx2 v[7:8], v2, s[2:3]
	s_waitcnt vmcnt(2)
	v_readfirstlane_b32 s30, v3
	v_readfirstlane_b32 s31, v4
	s_add_u32 s19, s30, 1
	s_addc_u32 s33, s31, 0
	s_add_u32 s0, s19, s26
	s_addc_u32 s1, s33, s27
	s_cmp_eq_u64 s[0:1], 0
	s_cselect_b32 s1, s33, s1
	s_cselect_b32 s0, s19, s0
	s_and_b64 s[26:27], s[0:1], s[30:31]
	s_mul_i32 s19, s27, 24
	s_mul_hi_u32 s27, s26, 24
	s_mul_i32 s26, s26, 24
	s_add_i32 s19, s27, s19
	v_mov_b32_e32 v1, s19
	s_waitcnt vmcnt(0)
	v_add_co_u32_e32 v3, vcc, s26, v7
	v_addc_co_u32_e32 v4, vcc, v8, v1, vcc
	v_mov_b32_e32 v9, s0
	global_store_dwordx2 v[3:4], v[11:12], off
	v_mov_b32_e32 v10, s1
	s_waitcnt vmcnt(0)
	global_atomic_cmpswap_x2 v[9:10], v2, v[9:12], s[2:3] offset:24 glc
	s_waitcnt vmcnt(0)
	v_cmp_ne_u64_e32 vcc, v[9:10], v[11:12]
	s_and_b64 exec, exec, vcc
	s_cbranch_execz .LBB0_141
; %bb.874:                              ;   in Loop: Header=BB0_142 Depth=1
	s_mov_b64 s[26:27], 0
.LBB0_875:                              ;   Parent Loop BB0_142 Depth=1
                                        ; =>  This Inner Loop Header: Depth=2
	s_sleep 1
	global_store_dwordx2 v[3:4], v[9:10], off
	v_mov_b32_e32 v7, s0
	v_mov_b32_e32 v8, s1
	s_waitcnt vmcnt(0)
	global_atomic_cmpswap_x2 v[7:8], v2, v[7:10], s[2:3] offset:24 glc
	s_waitcnt vmcnt(0)
	v_cmp_eq_u64_e32 vcc, v[7:8], v[9:10]
	v_mov_b32_e32 v10, v8
	s_or_b64 s[26:27], vcc, s[26:27]
	v_mov_b32_e32 v9, v7
	s_andn2_b64 exec, exec, s[26:27]
	s_cbranch_execnz .LBB0_875
	s_branch .LBB0_141
.LBB0_876:
	s_cmp_lt_i32 s9, 1
	s_cbranch_scc1 .LBB0_1163
; %bb.877:
	s_getpc_b64 s[0:1]
	s_add_u32 s0, s0, .str.5@rel32@lo+4
	s_addc_u32 s1, s1, .str.5@rel32@hi+12
	s_mov_b32 s11, 0
	s_cmp_lg_u64 s[0:1], 0
	s_cselect_b64 s[12:13], -1, 0
	v_mov_b32_e32 v2, 0
	s_mov_b32 s4, s11
	s_mov_b32 s5, s11
	;; [unrolled: 1-line block ×4, first 2 shown]
	s_movk_i32 s8, 0xff1f
	s_movk_i32 s30, 0xff1d
	v_mov_b32_e32 v5, 2
	s_waitcnt vmcnt(0)
	v_mov_b32_e32 v6, 1
	v_mov_b32_e32 v0, 33
	s_mov_b32 s10, s11
	s_branch .LBB0_879
.LBB0_878:                              ;   in Loop: Header=BB0_879 Depth=1
	s_or_b64 exec, exec, s[18:19]
	s_add_i32 s10, s10, 1
	s_cmp_lg_u32 s10, s9
	s_cbranch_scc0 .LBB0_1163
.LBB0_879:                              ; =>This Loop Header: Depth=1
                                        ;     Child Loop BB0_882 Depth 2
                                        ;     Child Loop BB0_890 Depth 2
                                        ;     Child Loop BB0_899 Depth 2
                                        ;     Child Loop BB0_904 Depth 2
                                        ;     Child Loop BB0_995 Depth 2
                                        ;     Child Loop BB0_1003 Depth 2
                                        ;     Child Loop BB0_1012 Depth 2
                                        ;     Child Loop BB0_1017 Depth 2
                                        ;     Child Loop BB0_908 Depth 2
                                        ;       Child Loop BB0_911 Depth 3
                                        ;       Child Loop BB0_919 Depth 3
	;; [unrolled: 1-line block ×11, first 2 shown]
                                        ;     Child Loop BB0_1021 Depth 2
                                        ;     Child Loop BB0_1113 Depth 2
	;; [unrolled: 1-line block ×6, first 2 shown]
                                        ;       Child Loop BB0_1029 Depth 3
                                        ;       Child Loop BB0_1037 Depth 3
	;; [unrolled: 1-line block ×11, first 2 shown]
                                        ;     Child Loop BB0_1140 Depth 2
                                        ;     Child Loop BB0_1148 Depth 2
	;; [unrolled: 1-line block ×4, first 2 shown]
	s_lshl_b64 s[0:1], s[10:11], 2
	s_add_u32 s0, s16, s0
	s_addc_u32 s1, s17, s1
	global_load_dword v1, v2, s[0:1]
	v_readfirstlane_b32 s0, v31
	v_mov_b32_e32 v3, 0
	v_mov_b32_e32 v4, 0
	v_cmp_eq_u32_e64 s[0:1], s0, v31
	s_waitcnt vmcnt(0)
	v_readfirstlane_b32 s31, v1
	s_and_saveexec_b64 s[14:15], s[0:1]
	s_cbranch_execz .LBB0_885
; %bb.880:                              ;   in Loop: Header=BB0_879 Depth=1
	global_load_dwordx2 v[9:10], v2, s[2:3] offset:24 glc
	s_waitcnt vmcnt(0)
	buffer_wbinvl1_vol
	global_load_dwordx2 v[3:4], v2, s[2:3] offset:40
	global_load_dwordx2 v[7:8], v2, s[2:3]
	s_waitcnt vmcnt(1)
	v_and_b32_e32 v1, v3, v9
	v_and_b32_e32 v3, v4, v10
	v_mul_lo_u32 v3, v3, 24
	v_mul_hi_u32 v4, v1, 24
	v_mul_lo_u32 v1, v1, 24
	v_add_u32_e32 v4, v4, v3
	s_waitcnt vmcnt(0)
	v_add_co_u32_e32 v3, vcc, v7, v1
	v_addc_co_u32_e32 v4, vcc, v8, v4, vcc
	global_load_dwordx2 v[7:8], v[3:4], off glc
	s_waitcnt vmcnt(0)
	global_atomic_cmpswap_x2 v[3:4], v2, v[7:10], s[2:3] offset:24 glc
	s_waitcnt vmcnt(0)
	buffer_wbinvl1_vol
	v_cmp_ne_u64_e32 vcc, v[3:4], v[9:10]
	s_and_saveexec_b64 s[18:19], vcc
	s_cbranch_execz .LBB0_884
; %bb.881:                              ;   in Loop: Header=BB0_879 Depth=1
	s_mov_b64 s[20:21], 0
.LBB0_882:                              ;   Parent Loop BB0_879 Depth=1
                                        ; =>  This Inner Loop Header: Depth=2
	s_sleep 1
	global_load_dwordx2 v[7:8], v2, s[2:3] offset:40
	global_load_dwordx2 v[11:12], v2, s[2:3]
	v_mov_b32_e32 v10, v4
	v_mov_b32_e32 v9, v3
	s_waitcnt vmcnt(1)
	v_and_b32_e32 v1, v7, v9
	s_waitcnt vmcnt(0)
	v_mad_u64_u32 v[3:4], s[22:23], v1, 24, v[11:12]
	v_and_b32_e32 v7, v8, v10
	v_mov_b32_e32 v1, v4
	v_mad_u64_u32 v[7:8], s[22:23], v7, 24, v[1:2]
	v_mov_b32_e32 v4, v7
	global_load_dwordx2 v[7:8], v[3:4], off glc
	s_waitcnt vmcnt(0)
	global_atomic_cmpswap_x2 v[3:4], v2, v[7:10], s[2:3] offset:24 glc
	s_waitcnt vmcnt(0)
	buffer_wbinvl1_vol
	v_cmp_eq_u64_e32 vcc, v[3:4], v[9:10]
	s_or_b64 s[20:21], vcc, s[20:21]
	s_andn2_b64 exec, exec, s[20:21]
	s_cbranch_execnz .LBB0_882
; %bb.883:                              ;   in Loop: Header=BB0_879 Depth=1
	s_or_b64 exec, exec, s[20:21]
.LBB0_884:                              ;   in Loop: Header=BB0_879 Depth=1
	s_or_b64 exec, exec, s[18:19]
.LBB0_885:                              ;   in Loop: Header=BB0_879 Depth=1
	s_or_b64 exec, exec, s[14:15]
	global_load_dwordx2 v[11:12], v2, s[2:3] offset:40
	global_load_dwordx4 v[7:10], v2, s[2:3]
	v_readfirstlane_b32 s15, v4
	v_readfirstlane_b32 s14, v3
	s_mov_b64 s[18:19], exec
	s_waitcnt vmcnt(1)
	v_readfirstlane_b32 s20, v11
	v_readfirstlane_b32 s21, v12
	s_and_b64 s[20:21], s[20:21], s[14:15]
	s_mul_i32 s22, s21, 24
	s_mul_hi_u32 s23, s20, 24
	s_mul_i32 s24, s20, 24
	s_add_i32 s22, s23, s22
	v_mov_b32_e32 v1, s22
	s_waitcnt vmcnt(0)
	v_add_co_u32_e32 v11, vcc, s24, v7
	v_addc_co_u32_e32 v12, vcc, v8, v1, vcc
	s_and_saveexec_b64 s[22:23], s[0:1]
	s_cbranch_execz .LBB0_887
; %bb.886:                              ;   in Loop: Header=BB0_879 Depth=1
	v_mov_b32_e32 v3, s18
	v_mov_b32_e32 v4, s19
	global_store_dwordx4 v[11:12], v[3:6], off offset:8
.LBB0_887:                              ;   in Loop: Header=BB0_879 Depth=1
	s_or_b64 exec, exec, s[22:23]
	s_lshl_b64 s[18:19], s[20:21], 12
	v_mov_b32_e32 v1, s19
	v_add_co_u32_e32 v13, vcc, s18, v9
	v_addc_co_u32_e32 v14, vcc, v10, v1, vcc
	v_mov_b32_e32 v18, s7
	v_mov_b32_e32 v1, v2
	;; [unrolled: 1-line block ×3, first 2 shown]
	v_readfirstlane_b32 s18, v13
	v_readfirstlane_b32 s19, v14
	v_mov_b32_e32 v17, s6
	v_mov_b32_e32 v16, s5
	v_mov_b32_e32 v15, s4
	s_nop 1
	global_store_dwordx4 v32, v[0:3], s[18:19]
	global_store_dwordx4 v32, v[15:18], s[18:19] offset:16
	global_store_dwordx4 v32, v[15:18], s[18:19] offset:32
	;; [unrolled: 1-line block ×3, first 2 shown]
	s_and_saveexec_b64 s[18:19], s[0:1]
	s_cbranch_execz .LBB0_895
; %bb.888:                              ;   in Loop: Header=BB0_879 Depth=1
	global_load_dwordx2 v[17:18], v2, s[2:3] offset:32 glc
	global_load_dwordx2 v[3:4], v2, s[2:3] offset:40
	v_mov_b32_e32 v15, s14
	v_mov_b32_e32 v16, s15
	s_waitcnt vmcnt(0)
	v_readfirstlane_b32 s20, v3
	v_readfirstlane_b32 s21, v4
	s_and_b64 s[20:21], s[20:21], s[14:15]
	s_mul_i32 s21, s21, 24
	s_mul_hi_u32 s22, s20, 24
	s_mul_i32 s20, s20, 24
	s_add_i32 s21, s22, s21
	v_mov_b32_e32 v1, s21
	v_add_co_u32_e32 v3, vcc, s20, v7
	v_addc_co_u32_e32 v4, vcc, v8, v1, vcc
	global_store_dwordx2 v[3:4], v[17:18], off
	s_waitcnt vmcnt(0)
	global_atomic_cmpswap_x2 v[9:10], v2, v[15:18], s[2:3] offset:32 glc
	s_waitcnt vmcnt(0)
	v_cmp_ne_u64_e32 vcc, v[9:10], v[17:18]
	s_and_saveexec_b64 s[20:21], vcc
	s_cbranch_execz .LBB0_891
; %bb.889:                              ;   in Loop: Header=BB0_879 Depth=1
	s_mov_b64 s[22:23], 0
.LBB0_890:                              ;   Parent Loop BB0_879 Depth=1
                                        ; =>  This Inner Loop Header: Depth=2
	s_sleep 1
	global_store_dwordx2 v[3:4], v[9:10], off
	v_mov_b32_e32 v7, s14
	v_mov_b32_e32 v8, s15
	s_waitcnt vmcnt(0)
	global_atomic_cmpswap_x2 v[7:8], v2, v[7:10], s[2:3] offset:32 glc
	s_waitcnt vmcnt(0)
	v_cmp_eq_u64_e32 vcc, v[7:8], v[9:10]
	v_mov_b32_e32 v10, v8
	s_or_b64 s[22:23], vcc, s[22:23]
	v_mov_b32_e32 v9, v7
	s_andn2_b64 exec, exec, s[22:23]
	s_cbranch_execnz .LBB0_890
.LBB0_891:                              ;   in Loop: Header=BB0_879 Depth=1
	s_or_b64 exec, exec, s[20:21]
	global_load_dwordx2 v[3:4], v2, s[2:3] offset:16
	s_mov_b64 s[22:23], exec
	v_mbcnt_lo_u32_b32 v1, s22, 0
	v_mbcnt_hi_u32_b32 v1, s23, v1
	v_cmp_eq_u32_e32 vcc, 0, v1
	s_and_saveexec_b64 s[20:21], vcc
	s_cbranch_execz .LBB0_893
; %bb.892:                              ;   in Loop: Header=BB0_879 Depth=1
	s_bcnt1_i32_b64 s22, s[22:23]
	v_mov_b32_e32 v1, s22
	s_waitcnt vmcnt(0)
	global_atomic_add_x2 v[3:4], v[1:2], off offset:8
.LBB0_893:                              ;   in Loop: Header=BB0_879 Depth=1
	s_or_b64 exec, exec, s[20:21]
	s_waitcnt vmcnt(0)
	global_load_dwordx2 v[7:8], v[3:4], off offset:16
	s_waitcnt vmcnt(0)
	v_cmp_eq_u64_e32 vcc, 0, v[7:8]
	s_cbranch_vccnz .LBB0_895
; %bb.894:                              ;   in Loop: Header=BB0_879 Depth=1
	global_load_dword v1, v[3:4], off offset:24
	s_waitcnt vmcnt(0)
	v_readfirstlane_b32 s20, v1
	s_and_b32 m0, s20, 0xffffff
	global_store_dwordx2 v[7:8], v[1:2], off
	s_sendmsg sendmsg(MSG_INTERRUPT)
.LBB0_895:                              ;   in Loop: Header=BB0_879 Depth=1
	s_or_b64 exec, exec, s[18:19]
	v_add_co_u32_e32 v3, vcc, v13, v32
	v_addc_co_u32_e32 v4, vcc, 0, v14, vcc
	s_branch .LBB0_899
.LBB0_896:                              ;   in Loop: Header=BB0_899 Depth=2
	s_or_b64 exec, exec, s[18:19]
	v_readfirstlane_b32 s18, v1
	s_cmp_eq_u32 s18, 0
	s_cbranch_scc1 .LBB0_898
; %bb.897:                              ;   in Loop: Header=BB0_899 Depth=2
	s_sleep 1
	s_cbranch_execnz .LBB0_899
	s_branch .LBB0_901
.LBB0_898:                              ;   in Loop: Header=BB0_879 Depth=1
	s_branch .LBB0_901
.LBB0_899:                              ;   Parent Loop BB0_879 Depth=1
                                        ; =>  This Inner Loop Header: Depth=2
	v_mov_b32_e32 v1, 1
	s_and_saveexec_b64 s[18:19], s[0:1]
	s_cbranch_execz .LBB0_896
; %bb.900:                              ;   in Loop: Header=BB0_899 Depth=2
	global_load_dword v1, v[11:12], off offset:20 glc
	s_waitcnt vmcnt(0)
	buffer_wbinvl1_vol
	v_and_b32_e32 v1, 1, v1
	s_branch .LBB0_896
.LBB0_901:                              ;   in Loop: Header=BB0_879 Depth=1
	global_load_dwordx2 v[11:12], v[3:4], off
	s_and_saveexec_b64 s[18:19], s[0:1]
	s_cbranch_execz .LBB0_905
; %bb.902:                              ;   in Loop: Header=BB0_879 Depth=1
	global_load_dwordx2 v[3:4], v2, s[2:3] offset:40
	global_load_dwordx2 v[15:16], v2, s[2:3] offset:24 glc
	global_load_dwordx2 v[7:8], v2, s[2:3]
	s_waitcnt vmcnt(2)
	v_readfirstlane_b32 s20, v3
	v_readfirstlane_b32 s21, v4
	s_add_u32 s22, s20, 1
	s_addc_u32 s23, s21, 0
	s_add_u32 s0, s22, s14
	s_addc_u32 s1, s23, s15
	s_cmp_eq_u64 s[0:1], 0
	s_cselect_b32 s1, s23, s1
	s_cselect_b32 s0, s22, s0
	s_and_b64 s[14:15], s[0:1], s[20:21]
	s_mul_i32 s15, s15, 24
	s_mul_hi_u32 s20, s14, 24
	s_mul_i32 s14, s14, 24
	s_add_i32 s15, s20, s15
	v_mov_b32_e32 v1, s15
	s_waitcnt vmcnt(0)
	v_add_co_u32_e32 v3, vcc, s14, v7
	v_addc_co_u32_e32 v4, vcc, v8, v1, vcc
	v_mov_b32_e32 v13, s0
	global_store_dwordx2 v[3:4], v[15:16], off
	v_mov_b32_e32 v14, s1
	s_waitcnt vmcnt(0)
	global_atomic_cmpswap_x2 v[9:10], v2, v[13:16], s[2:3] offset:24 glc
	s_waitcnt vmcnt(0)
	v_cmp_ne_u64_e32 vcc, v[9:10], v[15:16]
	s_and_b64 exec, exec, vcc
	s_cbranch_execz .LBB0_905
; %bb.903:                              ;   in Loop: Header=BB0_879 Depth=1
	s_mov_b64 s[14:15], 0
.LBB0_904:                              ;   Parent Loop BB0_879 Depth=1
                                        ; =>  This Inner Loop Header: Depth=2
	s_sleep 1
	global_store_dwordx2 v[3:4], v[9:10], off
	v_mov_b32_e32 v7, s0
	v_mov_b32_e32 v8, s1
	s_waitcnt vmcnt(0)
	global_atomic_cmpswap_x2 v[7:8], v2, v[7:10], s[2:3] offset:24 glc
	s_waitcnt vmcnt(0)
	v_cmp_eq_u64_e32 vcc, v[7:8], v[9:10]
	v_mov_b32_e32 v10, v8
	s_or_b64 s[14:15], vcc, s[14:15]
	v_mov_b32_e32 v9, v7
	s_andn2_b64 exec, exec, s[14:15]
	s_cbranch_execnz .LBB0_904
.LBB0_905:                              ;   in Loop: Header=BB0_879 Depth=1
	s_or_b64 exec, exec, s[18:19]
	s_and_b64 vcc, exec, s[12:13]
	s_cbranch_vccz .LBB0_991
; %bb.906:                              ;   in Loop: Header=BB0_879 Depth=1
	s_waitcnt vmcnt(0)
	v_and_b32_e32 v7, -3, v11
	v_mov_b32_e32 v8, v12
	s_mov_b64 s[18:19], 6
	s_getpc_b64 s[14:15]
	s_add_u32 s14, s14, .str.5@rel32@lo+4
	s_addc_u32 s15, s15, .str.5@rel32@hi+12
	s_branch .LBB0_908
.LBB0_907:                              ;   in Loop: Header=BB0_908 Depth=2
	s_or_b64 exec, exec, s[24:25]
	s_sub_u32 s18, s18, s20
	s_subb_u32 s19, s19, s21
	s_add_u32 s14, s14, s20
	s_addc_u32 s15, s15, s21
	s_cmp_lg_u64 s[18:19], 0
	s_cbranch_scc0 .LBB0_990
.LBB0_908:                              ;   Parent Loop BB0_879 Depth=1
                                        ; =>  This Loop Header: Depth=2
                                        ;       Child Loop BB0_911 Depth 3
                                        ;       Child Loop BB0_919 Depth 3
	;; [unrolled: 1-line block ×11, first 2 shown]
	v_cmp_lt_u64_e64 s[0:1], s[18:19], 56
	v_cmp_gt_u64_e64 s[22:23], s[18:19], 7
	s_and_b64 s[0:1], s[0:1], exec
	s_cselect_b32 s21, s19, 0
	s_cselect_b32 s20, s18, 56
	s_add_u32 s0, s14, 8
	s_addc_u32 s1, s15, 0
	s_and_b64 vcc, exec, s[22:23]
	s_cbranch_vccnz .LBB0_912
; %bb.909:                              ;   in Loop: Header=BB0_908 Depth=2
	s_cmp_eq_u64 s[18:19], 0
	s_cbranch_scc1 .LBB0_913
; %bb.910:                              ;   in Loop: Header=BB0_908 Depth=2
	v_mov_b32_e32 v9, 0
	s_lshl_b64 s[0:1], s[20:21], 3
	s_mov_b64 s[22:23], 0
	v_mov_b32_e32 v10, 0
	s_mov_b64 s[24:25], s[14:15]
.LBB0_911:                              ;   Parent Loop BB0_879 Depth=1
                                        ;     Parent Loop BB0_908 Depth=2
                                        ; =>    This Inner Loop Header: Depth=3
	global_load_ubyte v1, v2, s[24:25]
	s_waitcnt vmcnt(0)
	v_and_b32_e32 v1, 0xffff, v1
	v_lshlrev_b64 v[3:4], s22, v[1:2]
	s_add_u32 s22, s22, 8
	s_addc_u32 s23, s23, 0
	s_add_u32 s24, s24, 1
	s_addc_u32 s25, s25, 0
	v_or_b32_e32 v9, v3, v9
	s_cmp_lg_u32 s0, s22
	v_or_b32_e32 v10, v4, v10
	s_cbranch_scc1 .LBB0_911
	s_branch .LBB0_914
.LBB0_912:                              ;   in Loop: Header=BB0_908 Depth=2
	s_mov_b32 s26, 0
	s_branch .LBB0_915
.LBB0_913:                              ;   in Loop: Header=BB0_908 Depth=2
	v_mov_b32_e32 v9, 0
	v_mov_b32_e32 v10, 0
.LBB0_914:                              ;   in Loop: Header=BB0_908 Depth=2
	s_mov_b64 s[0:1], s[14:15]
	s_mov_b32 s26, 0
	s_cbranch_execnz .LBB0_916
.LBB0_915:                              ;   in Loop: Header=BB0_908 Depth=2
	global_load_dwordx2 v[9:10], v2, s[14:15]
	s_add_i32 s26, s20, -8
.LBB0_916:                              ;   in Loop: Header=BB0_908 Depth=2
	s_add_u32 s22, s0, 8
	s_addc_u32 s23, s1, 0
	s_cmp_gt_u32 s26, 7
	s_cbranch_scc1 .LBB0_920
; %bb.917:                              ;   in Loop: Header=BB0_908 Depth=2
	s_cmp_eq_u32 s26, 0
	s_cbranch_scc1 .LBB0_921
; %bb.918:                              ;   in Loop: Header=BB0_908 Depth=2
	v_mov_b32_e32 v13, 0
	s_mov_b64 s[22:23], 0
	v_mov_b32_e32 v14, 0
	s_mov_b64 s[24:25], 0
.LBB0_919:                              ;   Parent Loop BB0_879 Depth=1
                                        ;     Parent Loop BB0_908 Depth=2
                                        ; =>    This Inner Loop Header: Depth=3
	s_add_u32 s28, s0, s24
	s_addc_u32 s29, s1, s25
	global_load_ubyte v1, v2, s[28:29]
	s_add_u32 s24, s24, 1
	s_addc_u32 s25, s25, 0
	s_waitcnt vmcnt(0)
	v_and_b32_e32 v1, 0xffff, v1
	v_lshlrev_b64 v[3:4], s22, v[1:2]
	s_add_u32 s22, s22, 8
	s_addc_u32 s23, s23, 0
	v_or_b32_e32 v13, v3, v13
	s_cmp_lg_u32 s26, s24
	v_or_b32_e32 v14, v4, v14
	s_cbranch_scc1 .LBB0_919
	s_branch .LBB0_922
.LBB0_920:                              ;   in Loop: Header=BB0_908 Depth=2
                                        ; implicit-def: $vgpr13_vgpr14
	s_mov_b32 s27, 0
	s_branch .LBB0_923
.LBB0_921:                              ;   in Loop: Header=BB0_908 Depth=2
	v_mov_b32_e32 v13, 0
	v_mov_b32_e32 v14, 0
.LBB0_922:                              ;   in Loop: Header=BB0_908 Depth=2
	s_mov_b64 s[22:23], s[0:1]
	s_mov_b32 s27, 0
	s_cbranch_execnz .LBB0_924
.LBB0_923:                              ;   in Loop: Header=BB0_908 Depth=2
	global_load_dwordx2 v[13:14], v2, s[0:1]
	s_add_i32 s27, s26, -8
.LBB0_924:                              ;   in Loop: Header=BB0_908 Depth=2
	s_add_u32 s0, s22, 8
	s_addc_u32 s1, s23, 0
	s_cmp_gt_u32 s27, 7
	s_cbranch_scc1 .LBB0_928
; %bb.925:                              ;   in Loop: Header=BB0_908 Depth=2
	s_cmp_eq_u32 s27, 0
	s_cbranch_scc1 .LBB0_929
; %bb.926:                              ;   in Loop: Header=BB0_908 Depth=2
	v_mov_b32_e32 v15, 0
	s_mov_b64 s[0:1], 0
	v_mov_b32_e32 v16, 0
	s_mov_b64 s[24:25], 0
.LBB0_927:                              ;   Parent Loop BB0_879 Depth=1
                                        ;     Parent Loop BB0_908 Depth=2
                                        ; =>    This Inner Loop Header: Depth=3
	s_add_u32 s28, s22, s24
	s_addc_u32 s29, s23, s25
	global_load_ubyte v1, v2, s[28:29]
	s_add_u32 s24, s24, 1
	s_addc_u32 s25, s25, 0
	s_waitcnt vmcnt(0)
	v_and_b32_e32 v1, 0xffff, v1
	v_lshlrev_b64 v[3:4], s0, v[1:2]
	s_add_u32 s0, s0, 8
	s_addc_u32 s1, s1, 0
	v_or_b32_e32 v15, v3, v15
	s_cmp_lg_u32 s27, s24
	v_or_b32_e32 v16, v4, v16
	s_cbranch_scc1 .LBB0_927
	s_branch .LBB0_930
.LBB0_928:                              ;   in Loop: Header=BB0_908 Depth=2
	s_mov_b32 s26, 0
	s_branch .LBB0_931
.LBB0_929:                              ;   in Loop: Header=BB0_908 Depth=2
	v_mov_b32_e32 v15, 0
	v_mov_b32_e32 v16, 0
.LBB0_930:                              ;   in Loop: Header=BB0_908 Depth=2
	s_mov_b64 s[0:1], s[22:23]
	s_mov_b32 s26, 0
	s_cbranch_execnz .LBB0_932
.LBB0_931:                              ;   in Loop: Header=BB0_908 Depth=2
	global_load_dwordx2 v[15:16], v2, s[22:23]
	s_add_i32 s26, s27, -8
.LBB0_932:                              ;   in Loop: Header=BB0_908 Depth=2
	s_add_u32 s22, s0, 8
	s_addc_u32 s23, s1, 0
	s_cmp_gt_u32 s26, 7
	s_cbranch_scc1 .LBB0_936
; %bb.933:                              ;   in Loop: Header=BB0_908 Depth=2
	s_cmp_eq_u32 s26, 0
	s_cbranch_scc1 .LBB0_937
; %bb.934:                              ;   in Loop: Header=BB0_908 Depth=2
	v_mov_b32_e32 v17, 0
	s_mov_b64 s[22:23], 0
	v_mov_b32_e32 v18, 0
	s_mov_b64 s[24:25], 0
.LBB0_935:                              ;   Parent Loop BB0_879 Depth=1
                                        ;     Parent Loop BB0_908 Depth=2
                                        ; =>    This Inner Loop Header: Depth=3
	s_add_u32 s28, s0, s24
	s_addc_u32 s29, s1, s25
	global_load_ubyte v1, v2, s[28:29]
	s_add_u32 s24, s24, 1
	s_addc_u32 s25, s25, 0
	s_waitcnt vmcnt(0)
	v_and_b32_e32 v1, 0xffff, v1
	v_lshlrev_b64 v[3:4], s22, v[1:2]
	s_add_u32 s22, s22, 8
	s_addc_u32 s23, s23, 0
	v_or_b32_e32 v17, v3, v17
	s_cmp_lg_u32 s26, s24
	v_or_b32_e32 v18, v4, v18
	s_cbranch_scc1 .LBB0_935
	s_branch .LBB0_938
.LBB0_936:                              ;   in Loop: Header=BB0_908 Depth=2
                                        ; implicit-def: $vgpr17_vgpr18
	s_mov_b32 s27, 0
	s_branch .LBB0_939
.LBB0_937:                              ;   in Loop: Header=BB0_908 Depth=2
	v_mov_b32_e32 v17, 0
	v_mov_b32_e32 v18, 0
.LBB0_938:                              ;   in Loop: Header=BB0_908 Depth=2
	s_mov_b64 s[22:23], s[0:1]
	s_mov_b32 s27, 0
	s_cbranch_execnz .LBB0_940
.LBB0_939:                              ;   in Loop: Header=BB0_908 Depth=2
	global_load_dwordx2 v[17:18], v2, s[0:1]
	s_add_i32 s27, s26, -8
.LBB0_940:                              ;   in Loop: Header=BB0_908 Depth=2
	s_add_u32 s0, s22, 8
	s_addc_u32 s1, s23, 0
	s_cmp_gt_u32 s27, 7
	s_cbranch_scc1 .LBB0_944
; %bb.941:                              ;   in Loop: Header=BB0_908 Depth=2
	s_cmp_eq_u32 s27, 0
	s_cbranch_scc1 .LBB0_945
; %bb.942:                              ;   in Loop: Header=BB0_908 Depth=2
	v_mov_b32_e32 v19, 0
	s_mov_b64 s[0:1], 0
	v_mov_b32_e32 v20, 0
	s_mov_b64 s[24:25], 0
.LBB0_943:                              ;   Parent Loop BB0_879 Depth=1
                                        ;     Parent Loop BB0_908 Depth=2
                                        ; =>    This Inner Loop Header: Depth=3
	s_add_u32 s28, s22, s24
	s_addc_u32 s29, s23, s25
	global_load_ubyte v1, v2, s[28:29]
	s_add_u32 s24, s24, 1
	s_addc_u32 s25, s25, 0
	s_waitcnt vmcnt(0)
	v_and_b32_e32 v1, 0xffff, v1
	v_lshlrev_b64 v[3:4], s0, v[1:2]
	s_add_u32 s0, s0, 8
	s_addc_u32 s1, s1, 0
	v_or_b32_e32 v19, v3, v19
	s_cmp_lg_u32 s27, s24
	v_or_b32_e32 v20, v4, v20
	s_cbranch_scc1 .LBB0_943
	s_branch .LBB0_946
.LBB0_944:                              ;   in Loop: Header=BB0_908 Depth=2
	s_mov_b32 s26, 0
	s_branch .LBB0_947
.LBB0_945:                              ;   in Loop: Header=BB0_908 Depth=2
	v_mov_b32_e32 v19, 0
	v_mov_b32_e32 v20, 0
.LBB0_946:                              ;   in Loop: Header=BB0_908 Depth=2
	s_mov_b64 s[0:1], s[22:23]
	s_mov_b32 s26, 0
	s_cbranch_execnz .LBB0_948
.LBB0_947:                              ;   in Loop: Header=BB0_908 Depth=2
	global_load_dwordx2 v[19:20], v2, s[22:23]
	s_add_i32 s26, s27, -8
.LBB0_948:                              ;   in Loop: Header=BB0_908 Depth=2
	s_add_u32 s22, s0, 8
	s_addc_u32 s23, s1, 0
	s_cmp_gt_u32 s26, 7
	s_cbranch_scc1 .LBB0_952
; %bb.949:                              ;   in Loop: Header=BB0_908 Depth=2
	s_cmp_eq_u32 s26, 0
	s_cbranch_scc1 .LBB0_953
; %bb.950:                              ;   in Loop: Header=BB0_908 Depth=2
	v_mov_b32_e32 v21, 0
	s_mov_b64 s[22:23], 0
	v_mov_b32_e32 v22, 0
	s_mov_b64 s[24:25], 0
.LBB0_951:                              ;   Parent Loop BB0_879 Depth=1
                                        ;     Parent Loop BB0_908 Depth=2
                                        ; =>    This Inner Loop Header: Depth=3
	s_add_u32 s28, s0, s24
	s_addc_u32 s29, s1, s25
	global_load_ubyte v1, v2, s[28:29]
	s_add_u32 s24, s24, 1
	s_addc_u32 s25, s25, 0
	s_waitcnt vmcnt(0)
	v_and_b32_e32 v1, 0xffff, v1
	v_lshlrev_b64 v[3:4], s22, v[1:2]
	s_add_u32 s22, s22, 8
	s_addc_u32 s23, s23, 0
	v_or_b32_e32 v21, v3, v21
	s_cmp_lg_u32 s26, s24
	v_or_b32_e32 v22, v4, v22
	s_cbranch_scc1 .LBB0_951
	s_branch .LBB0_954
.LBB0_952:                              ;   in Loop: Header=BB0_908 Depth=2
                                        ; implicit-def: $vgpr21_vgpr22
	s_mov_b32 s27, 0
	s_branch .LBB0_955
.LBB0_953:                              ;   in Loop: Header=BB0_908 Depth=2
	v_mov_b32_e32 v21, 0
	v_mov_b32_e32 v22, 0
.LBB0_954:                              ;   in Loop: Header=BB0_908 Depth=2
	s_mov_b64 s[22:23], s[0:1]
	s_mov_b32 s27, 0
	s_cbranch_execnz .LBB0_956
.LBB0_955:                              ;   in Loop: Header=BB0_908 Depth=2
	global_load_dwordx2 v[21:22], v2, s[0:1]
	s_add_i32 s27, s26, -8
.LBB0_956:                              ;   in Loop: Header=BB0_908 Depth=2
	s_cmp_gt_u32 s27, 7
	s_cbranch_scc1 .LBB0_960
; %bb.957:                              ;   in Loop: Header=BB0_908 Depth=2
	s_cmp_eq_u32 s27, 0
	s_cbranch_scc1 .LBB0_961
; %bb.958:                              ;   in Loop: Header=BB0_908 Depth=2
	v_mov_b32_e32 v23, 0
	s_mov_b64 s[0:1], 0
	v_mov_b32_e32 v24, 0
	s_mov_b64 s[24:25], s[22:23]
.LBB0_959:                              ;   Parent Loop BB0_879 Depth=1
                                        ;     Parent Loop BB0_908 Depth=2
                                        ; =>    This Inner Loop Header: Depth=3
	global_load_ubyte v1, v2, s[24:25]
	s_add_i32 s27, s27, -1
	s_waitcnt vmcnt(0)
	v_and_b32_e32 v1, 0xffff, v1
	v_lshlrev_b64 v[3:4], s0, v[1:2]
	s_add_u32 s0, s0, 8
	s_addc_u32 s1, s1, 0
	s_add_u32 s24, s24, 1
	s_addc_u32 s25, s25, 0
	v_or_b32_e32 v23, v3, v23
	s_cmp_lg_u32 s27, 0
	v_or_b32_e32 v24, v4, v24
	s_cbranch_scc1 .LBB0_959
	s_branch .LBB0_962
.LBB0_960:                              ;   in Loop: Header=BB0_908 Depth=2
	s_branch .LBB0_963
.LBB0_961:                              ;   in Loop: Header=BB0_908 Depth=2
	v_mov_b32_e32 v23, 0
	v_mov_b32_e32 v24, 0
.LBB0_962:                              ;   in Loop: Header=BB0_908 Depth=2
	s_cbranch_execnz .LBB0_964
.LBB0_963:                              ;   in Loop: Header=BB0_908 Depth=2
	global_load_dwordx2 v[23:24], v2, s[22:23]
.LBB0_964:                              ;   in Loop: Header=BB0_908 Depth=2
	v_readfirstlane_b32 s0, v31
	v_mov_b32_e32 v3, 0
	v_mov_b32_e32 v4, 0
	v_cmp_eq_u32_e64 s[0:1], s0, v31
	s_and_saveexec_b64 s[22:23], s[0:1]
	s_cbranch_execz .LBB0_970
; %bb.965:                              ;   in Loop: Header=BB0_908 Depth=2
	global_load_dwordx2 v[27:28], v2, s[2:3] offset:24 glc
	s_waitcnt vmcnt(0)
	buffer_wbinvl1_vol
	global_load_dwordx2 v[3:4], v2, s[2:3] offset:40
	global_load_dwordx2 v[25:26], v2, s[2:3]
	s_waitcnt vmcnt(1)
	v_and_b32_e32 v1, v3, v27
	v_and_b32_e32 v3, v4, v28
	v_mul_lo_u32 v3, v3, 24
	v_mul_hi_u32 v4, v1, 24
	v_mul_lo_u32 v1, v1, 24
	v_add_u32_e32 v4, v4, v3
	s_waitcnt vmcnt(0)
	v_add_co_u32_e32 v3, vcc, v25, v1
	v_addc_co_u32_e32 v4, vcc, v26, v4, vcc
	global_load_dwordx2 v[25:26], v[3:4], off glc
	s_waitcnt vmcnt(0)
	global_atomic_cmpswap_x2 v[3:4], v2, v[25:28], s[2:3] offset:24 glc
	s_waitcnt vmcnt(0)
	buffer_wbinvl1_vol
	v_cmp_ne_u64_e32 vcc, v[3:4], v[27:28]
	s_and_saveexec_b64 s[24:25], vcc
	s_cbranch_execz .LBB0_969
; %bb.966:                              ;   in Loop: Header=BB0_908 Depth=2
	s_mov_b64 s[26:27], 0
.LBB0_967:                              ;   Parent Loop BB0_879 Depth=1
                                        ;     Parent Loop BB0_908 Depth=2
                                        ; =>    This Inner Loop Header: Depth=3
	s_sleep 1
	global_load_dwordx2 v[25:26], v2, s[2:3] offset:40
	global_load_dwordx2 v[29:30], v2, s[2:3]
	v_mov_b32_e32 v28, v4
	v_mov_b32_e32 v27, v3
	s_waitcnt vmcnt(1)
	v_and_b32_e32 v1, v25, v27
	s_waitcnt vmcnt(0)
	v_mad_u64_u32 v[3:4], s[28:29], v1, 24, v[29:30]
	v_and_b32_e32 v25, v26, v28
	v_mov_b32_e32 v1, v4
	v_mad_u64_u32 v[25:26], s[28:29], v25, 24, v[1:2]
	v_mov_b32_e32 v4, v25
	global_load_dwordx2 v[25:26], v[3:4], off glc
	s_waitcnt vmcnt(0)
	global_atomic_cmpswap_x2 v[3:4], v2, v[25:28], s[2:3] offset:24 glc
	s_waitcnt vmcnt(0)
	buffer_wbinvl1_vol
	v_cmp_eq_u64_e32 vcc, v[3:4], v[27:28]
	s_or_b64 s[26:27], vcc, s[26:27]
	s_andn2_b64 exec, exec, s[26:27]
	s_cbranch_execnz .LBB0_967
; %bb.968:                              ;   in Loop: Header=BB0_908 Depth=2
	s_or_b64 exec, exec, s[26:27]
.LBB0_969:                              ;   in Loop: Header=BB0_908 Depth=2
	s_or_b64 exec, exec, s[24:25]
.LBB0_970:                              ;   in Loop: Header=BB0_908 Depth=2
	s_or_b64 exec, exec, s[22:23]
	global_load_dwordx2 v[29:30], v2, s[2:3] offset:40
	global_load_dwordx4 v[25:28], v2, s[2:3]
	v_readfirstlane_b32 s23, v4
	v_readfirstlane_b32 s22, v3
	s_mov_b64 s[24:25], exec
	s_waitcnt vmcnt(1)
	v_readfirstlane_b32 s26, v29
	v_readfirstlane_b32 s27, v30
	s_and_b64 s[26:27], s[26:27], s[22:23]
	s_mul_i32 s28, s27, 24
	s_mul_hi_u32 s29, s26, 24
	s_mul_i32 s33, s26, 24
	s_add_i32 s28, s29, s28
	v_mov_b32_e32 v1, s28
	s_waitcnt vmcnt(0)
	v_add_co_u32_e32 v29, vcc, s33, v25
	v_addc_co_u32_e32 v30, vcc, v26, v1, vcc
	s_and_saveexec_b64 s[28:29], s[0:1]
	s_cbranch_execz .LBB0_972
; %bb.971:                              ;   in Loop: Header=BB0_908 Depth=2
	v_mov_b32_e32 v3, s24
	v_mov_b32_e32 v4, s25
	global_store_dwordx4 v[29:30], v[3:6], off offset:8
.LBB0_972:                              ;   in Loop: Header=BB0_908 Depth=2
	s_or_b64 exec, exec, s[28:29]
	s_lshl_b64 s[24:25], s[26:27], 12
	v_mov_b32_e32 v1, s25
	v_add_co_u32_e32 v27, vcc, s24, v27
	v_addc_co_u32_e32 v28, vcc, v28, v1, vcc
	v_cmp_lt_u64_e64 vcc, s[18:19], 57
	v_and_b32_e32 v1, 2, v11
	s_lshl_b32 s24, s20, 2
	v_cndmask_b32_e32 v1, 0, v1, vcc
	s_add_i32 s24, s24, 28
	v_and_b32_e32 v3, 0xffffff1f, v7
	s_and_b32 s24, s24, 0x1e0
	v_or_b32_e32 v1, v3, v1
	v_or_b32_e32 v7, s24, v1
	v_readfirstlane_b32 s24, v27
	v_readfirstlane_b32 s25, v28
	s_nop 4
	global_store_dwordx4 v32, v[7:10], s[24:25]
	global_store_dwordx4 v32, v[13:16], s[24:25] offset:16
	global_store_dwordx4 v32, v[17:20], s[24:25] offset:32
	;; [unrolled: 1-line block ×3, first 2 shown]
	s_and_saveexec_b64 s[24:25], s[0:1]
	s_cbranch_execz .LBB0_980
; %bb.973:                              ;   in Loop: Header=BB0_908 Depth=2
	global_load_dwordx2 v[15:16], v2, s[2:3] offset:32 glc
	global_load_dwordx2 v[3:4], v2, s[2:3] offset:40
	v_mov_b32_e32 v13, s22
	v_mov_b32_e32 v14, s23
	s_waitcnt vmcnt(0)
	v_readfirstlane_b32 s26, v3
	v_readfirstlane_b32 s27, v4
	s_and_b64 s[26:27], s[26:27], s[22:23]
	s_mul_i32 s27, s27, 24
	s_mul_hi_u32 s28, s26, 24
	s_mul_i32 s26, s26, 24
	s_add_i32 s27, s28, s27
	v_mov_b32_e32 v1, s27
	v_add_co_u32_e32 v3, vcc, s26, v25
	v_addc_co_u32_e32 v4, vcc, v26, v1, vcc
	global_store_dwordx2 v[3:4], v[15:16], off
	s_waitcnt vmcnt(0)
	global_atomic_cmpswap_x2 v[9:10], v2, v[13:16], s[2:3] offset:32 glc
	s_waitcnt vmcnt(0)
	v_cmp_ne_u64_e32 vcc, v[9:10], v[15:16]
	s_and_saveexec_b64 s[26:27], vcc
	s_cbranch_execz .LBB0_976
; %bb.974:                              ;   in Loop: Header=BB0_908 Depth=2
	s_mov_b64 s[28:29], 0
.LBB0_975:                              ;   Parent Loop BB0_879 Depth=1
                                        ;     Parent Loop BB0_908 Depth=2
                                        ; =>    This Inner Loop Header: Depth=3
	s_sleep 1
	global_store_dwordx2 v[3:4], v[9:10], off
	v_mov_b32_e32 v7, s22
	v_mov_b32_e32 v8, s23
	s_waitcnt vmcnt(0)
	global_atomic_cmpswap_x2 v[7:8], v2, v[7:10], s[2:3] offset:32 glc
	s_waitcnt vmcnt(0)
	v_cmp_eq_u64_e32 vcc, v[7:8], v[9:10]
	v_mov_b32_e32 v10, v8
	s_or_b64 s[28:29], vcc, s[28:29]
	v_mov_b32_e32 v9, v7
	s_andn2_b64 exec, exec, s[28:29]
	s_cbranch_execnz .LBB0_975
.LBB0_976:                              ;   in Loop: Header=BB0_908 Depth=2
	s_or_b64 exec, exec, s[26:27]
	global_load_dwordx2 v[3:4], v2, s[2:3] offset:16
	s_mov_b64 s[28:29], exec
	v_mbcnt_lo_u32_b32 v1, s28, 0
	v_mbcnt_hi_u32_b32 v1, s29, v1
	v_cmp_eq_u32_e32 vcc, 0, v1
	s_and_saveexec_b64 s[26:27], vcc
	s_cbranch_execz .LBB0_978
; %bb.977:                              ;   in Loop: Header=BB0_908 Depth=2
	s_bcnt1_i32_b64 s28, s[28:29]
	v_mov_b32_e32 v1, s28
	s_waitcnt vmcnt(0)
	global_atomic_add_x2 v[3:4], v[1:2], off offset:8
.LBB0_978:                              ;   in Loop: Header=BB0_908 Depth=2
	s_or_b64 exec, exec, s[26:27]
	s_waitcnt vmcnt(0)
	global_load_dwordx2 v[7:8], v[3:4], off offset:16
	s_waitcnt vmcnt(0)
	v_cmp_eq_u64_e32 vcc, 0, v[7:8]
	s_cbranch_vccnz .LBB0_980
; %bb.979:                              ;   in Loop: Header=BB0_908 Depth=2
	global_load_dword v1, v[3:4], off offset:24
	s_waitcnt vmcnt(0)
	v_readfirstlane_b32 s26, v1
	s_and_b32 m0, s26, 0xffffff
	global_store_dwordx2 v[7:8], v[1:2], off
	s_sendmsg sendmsg(MSG_INTERRUPT)
.LBB0_980:                              ;   in Loop: Header=BB0_908 Depth=2
	s_or_b64 exec, exec, s[24:25]
	v_add_co_u32_e32 v3, vcc, v27, v32
	v_addc_co_u32_e32 v4, vcc, 0, v28, vcc
	s_branch .LBB0_984
.LBB0_981:                              ;   in Loop: Header=BB0_984 Depth=3
	s_or_b64 exec, exec, s[24:25]
	v_readfirstlane_b32 s24, v1
	s_cmp_eq_u32 s24, 0
	s_cbranch_scc1 .LBB0_983
; %bb.982:                              ;   in Loop: Header=BB0_984 Depth=3
	s_sleep 1
	s_cbranch_execnz .LBB0_984
	s_branch .LBB0_986
.LBB0_983:                              ;   in Loop: Header=BB0_908 Depth=2
	s_branch .LBB0_986
.LBB0_984:                              ;   Parent Loop BB0_879 Depth=1
                                        ;     Parent Loop BB0_908 Depth=2
                                        ; =>    This Inner Loop Header: Depth=3
	v_mov_b32_e32 v1, 1
	s_and_saveexec_b64 s[24:25], s[0:1]
	s_cbranch_execz .LBB0_981
; %bb.985:                              ;   in Loop: Header=BB0_984 Depth=3
	global_load_dword v1, v[29:30], off offset:20 glc
	s_waitcnt vmcnt(0)
	buffer_wbinvl1_vol
	v_and_b32_e32 v1, 1, v1
	s_branch .LBB0_981
.LBB0_986:                              ;   in Loop: Header=BB0_908 Depth=2
	global_load_dwordx2 v[7:8], v[3:4], off
	s_and_saveexec_b64 s[24:25], s[0:1]
	s_cbranch_execz .LBB0_907
; %bb.987:                              ;   in Loop: Header=BB0_908 Depth=2
	global_load_dwordx2 v[3:4], v2, s[2:3] offset:40
	global_load_dwordx2 v[17:18], v2, s[2:3] offset:24 glc
	global_load_dwordx2 v[9:10], v2, s[2:3]
	s_waitcnt vmcnt(2)
	v_readfirstlane_b32 s26, v3
	v_readfirstlane_b32 s27, v4
	s_add_u32 s28, s26, 1
	s_addc_u32 s29, s27, 0
	s_add_u32 s0, s28, s22
	s_addc_u32 s1, s29, s23
	s_cmp_eq_u64 s[0:1], 0
	s_cselect_b32 s1, s29, s1
	s_cselect_b32 s0, s28, s0
	s_and_b64 s[22:23], s[0:1], s[26:27]
	s_mul_i32 s23, s23, 24
	s_mul_hi_u32 s26, s22, 24
	s_mul_i32 s22, s22, 24
	s_add_i32 s23, s26, s23
	v_mov_b32_e32 v1, s23
	s_waitcnt vmcnt(0)
	v_add_co_u32_e32 v3, vcc, s22, v9
	v_addc_co_u32_e32 v4, vcc, v10, v1, vcc
	v_mov_b32_e32 v15, s0
	global_store_dwordx2 v[3:4], v[17:18], off
	v_mov_b32_e32 v16, s1
	s_waitcnt vmcnt(0)
	global_atomic_cmpswap_x2 v[15:16], v2, v[15:18], s[2:3] offset:24 glc
	s_waitcnt vmcnt(0)
	v_cmp_ne_u64_e32 vcc, v[15:16], v[17:18]
	s_and_b64 exec, exec, vcc
	s_cbranch_execz .LBB0_907
; %bb.988:                              ;   in Loop: Header=BB0_908 Depth=2
	s_mov_b64 s[22:23], 0
.LBB0_989:                              ;   Parent Loop BB0_879 Depth=1
                                        ;     Parent Loop BB0_908 Depth=2
                                        ; =>    This Inner Loop Header: Depth=3
	s_sleep 1
	global_store_dwordx2 v[3:4], v[15:16], off
	v_mov_b32_e32 v13, s0
	v_mov_b32_e32 v14, s1
	s_waitcnt vmcnt(0)
	global_atomic_cmpswap_x2 v[9:10], v2, v[13:16], s[2:3] offset:24 glc
	s_waitcnt vmcnt(0)
	v_cmp_eq_u64_e32 vcc, v[9:10], v[15:16]
	v_mov_b32_e32 v16, v10
	s_or_b64 s[22:23], vcc, s[22:23]
	v_mov_b32_e32 v15, v9
	s_andn2_b64 exec, exec, s[22:23]
	s_cbranch_execnz .LBB0_989
	s_branch .LBB0_907
.LBB0_990:                              ;   in Loop: Header=BB0_879 Depth=1
	s_branch .LBB0_1019
.LBB0_991:                              ;   in Loop: Header=BB0_879 Depth=1
                                        ; implicit-def: $vgpr7_vgpr8
	s_cbranch_execz .LBB0_1019
; %bb.992:                              ;   in Loop: Header=BB0_879 Depth=1
	v_readfirstlane_b32 s0, v31
	v_mov_b32_e32 v3, 0
	v_mov_b32_e32 v4, 0
	v_cmp_eq_u32_e64 s[0:1], s0, v31
	s_and_saveexec_b64 s[14:15], s[0:1]
	s_cbranch_execz .LBB0_998
; %bb.993:                              ;   in Loop: Header=BB0_879 Depth=1
	global_load_dwordx2 v[9:10], v2, s[2:3] offset:24 glc
	s_waitcnt vmcnt(0)
	buffer_wbinvl1_vol
	global_load_dwordx2 v[3:4], v2, s[2:3] offset:40
	global_load_dwordx2 v[7:8], v2, s[2:3]
	s_waitcnt vmcnt(1)
	v_and_b32_e32 v1, v3, v9
	v_and_b32_e32 v3, v4, v10
	v_mul_lo_u32 v3, v3, 24
	v_mul_hi_u32 v4, v1, 24
	v_mul_lo_u32 v1, v1, 24
	v_add_u32_e32 v4, v4, v3
	s_waitcnt vmcnt(0)
	v_add_co_u32_e32 v3, vcc, v7, v1
	v_addc_co_u32_e32 v4, vcc, v8, v4, vcc
	global_load_dwordx2 v[7:8], v[3:4], off glc
	s_waitcnt vmcnt(0)
	global_atomic_cmpswap_x2 v[3:4], v2, v[7:10], s[2:3] offset:24 glc
	s_waitcnt vmcnt(0)
	buffer_wbinvl1_vol
	v_cmp_ne_u64_e32 vcc, v[3:4], v[9:10]
	s_and_saveexec_b64 s[18:19], vcc
	s_cbranch_execz .LBB0_997
; %bb.994:                              ;   in Loop: Header=BB0_879 Depth=1
	s_mov_b64 s[20:21], 0
.LBB0_995:                              ;   Parent Loop BB0_879 Depth=1
                                        ; =>  This Inner Loop Header: Depth=2
	s_sleep 1
	global_load_dwordx2 v[7:8], v2, s[2:3] offset:40
	global_load_dwordx2 v[13:14], v2, s[2:3]
	v_mov_b32_e32 v10, v4
	v_mov_b32_e32 v9, v3
	s_waitcnt vmcnt(1)
	v_and_b32_e32 v1, v7, v9
	s_waitcnt vmcnt(0)
	v_mad_u64_u32 v[3:4], s[22:23], v1, 24, v[13:14]
	v_and_b32_e32 v7, v8, v10
	v_mov_b32_e32 v1, v4
	v_mad_u64_u32 v[7:8], s[22:23], v7, 24, v[1:2]
	v_mov_b32_e32 v4, v7
	global_load_dwordx2 v[7:8], v[3:4], off glc
	s_waitcnt vmcnt(0)
	global_atomic_cmpswap_x2 v[3:4], v2, v[7:10], s[2:3] offset:24 glc
	s_waitcnt vmcnt(0)
	buffer_wbinvl1_vol
	v_cmp_eq_u64_e32 vcc, v[3:4], v[9:10]
	s_or_b64 s[20:21], vcc, s[20:21]
	s_andn2_b64 exec, exec, s[20:21]
	s_cbranch_execnz .LBB0_995
; %bb.996:                              ;   in Loop: Header=BB0_879 Depth=1
	s_or_b64 exec, exec, s[20:21]
.LBB0_997:                              ;   in Loop: Header=BB0_879 Depth=1
	s_or_b64 exec, exec, s[18:19]
.LBB0_998:                              ;   in Loop: Header=BB0_879 Depth=1
	s_or_b64 exec, exec, s[14:15]
	global_load_dwordx2 v[13:14], v2, s[2:3] offset:40
	global_load_dwordx4 v[7:10], v2, s[2:3]
	v_readfirstlane_b32 s15, v4
	v_readfirstlane_b32 s14, v3
	s_mov_b64 s[18:19], exec
	s_waitcnt vmcnt(1)
	v_readfirstlane_b32 s20, v13
	v_readfirstlane_b32 s21, v14
	s_and_b64 s[20:21], s[20:21], s[14:15]
	s_mul_i32 s22, s21, 24
	s_mul_hi_u32 s23, s20, 24
	s_mul_i32 s24, s20, 24
	s_add_i32 s22, s23, s22
	v_mov_b32_e32 v1, s22
	s_waitcnt vmcnt(0)
	v_add_co_u32_e32 v15, vcc, s24, v7
	v_addc_co_u32_e32 v16, vcc, v8, v1, vcc
	s_and_saveexec_b64 s[22:23], s[0:1]
	s_cbranch_execz .LBB0_1000
; %bb.999:                              ;   in Loop: Header=BB0_879 Depth=1
	v_mov_b32_e32 v3, s18
	v_mov_b32_e32 v4, s19
	global_store_dwordx4 v[15:16], v[3:6], off offset:8
.LBB0_1000:                             ;   in Loop: Header=BB0_879 Depth=1
	s_or_b64 exec, exec, s[22:23]
	s_lshl_b64 s[18:19], s[20:21], 12
	v_mov_b32_e32 v1, s19
	v_add_co_u32_e32 v17, vcc, s18, v9
	v_addc_co_u32_e32 v18, vcc, v10, v1, vcc
	v_and_or_b32 v11, v11, s8, 32
	v_mov_b32_e32 v13, v2
	v_mov_b32_e32 v14, v2
	v_readfirstlane_b32 s18, v17
	v_readfirstlane_b32 s19, v18
	s_nop 4
	global_store_dwordx4 v32, v[11:14], s[18:19]
	s_nop 0
	v_mov_b32_e32 v12, s7
	v_mov_b32_e32 v11, s6
	;; [unrolled: 1-line block ×4, first 2 shown]
	global_store_dwordx4 v32, v[9:12], s[18:19] offset:16
	global_store_dwordx4 v32, v[9:12], s[18:19] offset:32
	global_store_dwordx4 v32, v[9:12], s[18:19] offset:48
	s_and_saveexec_b64 s[18:19], s[0:1]
	s_cbranch_execz .LBB0_1008
; %bb.1001:                             ;   in Loop: Header=BB0_879 Depth=1
	global_load_dwordx2 v[11:12], v2, s[2:3] offset:32 glc
	global_load_dwordx2 v[3:4], v2, s[2:3] offset:40
	v_mov_b32_e32 v9, s14
	v_mov_b32_e32 v10, s15
	s_waitcnt vmcnt(0)
	v_readfirstlane_b32 s20, v3
	v_readfirstlane_b32 s21, v4
	s_and_b64 s[20:21], s[20:21], s[14:15]
	s_mul_i32 s21, s21, 24
	s_mul_hi_u32 s22, s20, 24
	s_mul_i32 s20, s20, 24
	s_add_i32 s21, s22, s21
	v_mov_b32_e32 v1, s21
	v_add_co_u32_e32 v3, vcc, s20, v7
	v_addc_co_u32_e32 v4, vcc, v8, v1, vcc
	global_store_dwordx2 v[3:4], v[11:12], off
	s_waitcnt vmcnt(0)
	global_atomic_cmpswap_x2 v[9:10], v2, v[9:12], s[2:3] offset:32 glc
	s_waitcnt vmcnt(0)
	v_cmp_ne_u64_e32 vcc, v[9:10], v[11:12]
	s_and_saveexec_b64 s[20:21], vcc
	s_cbranch_execz .LBB0_1004
; %bb.1002:                             ;   in Loop: Header=BB0_879 Depth=1
	s_mov_b64 s[22:23], 0
.LBB0_1003:                             ;   Parent Loop BB0_879 Depth=1
                                        ; =>  This Inner Loop Header: Depth=2
	s_sleep 1
	global_store_dwordx2 v[3:4], v[9:10], off
	v_mov_b32_e32 v7, s14
	v_mov_b32_e32 v8, s15
	s_waitcnt vmcnt(0)
	global_atomic_cmpswap_x2 v[7:8], v2, v[7:10], s[2:3] offset:32 glc
	s_waitcnt vmcnt(0)
	v_cmp_eq_u64_e32 vcc, v[7:8], v[9:10]
	v_mov_b32_e32 v10, v8
	s_or_b64 s[22:23], vcc, s[22:23]
	v_mov_b32_e32 v9, v7
	s_andn2_b64 exec, exec, s[22:23]
	s_cbranch_execnz .LBB0_1003
.LBB0_1004:                             ;   in Loop: Header=BB0_879 Depth=1
	s_or_b64 exec, exec, s[20:21]
	global_load_dwordx2 v[3:4], v2, s[2:3] offset:16
	s_mov_b64 s[22:23], exec
	v_mbcnt_lo_u32_b32 v1, s22, 0
	v_mbcnt_hi_u32_b32 v1, s23, v1
	v_cmp_eq_u32_e32 vcc, 0, v1
	s_and_saveexec_b64 s[20:21], vcc
	s_cbranch_execz .LBB0_1006
; %bb.1005:                             ;   in Loop: Header=BB0_879 Depth=1
	s_bcnt1_i32_b64 s22, s[22:23]
	v_mov_b32_e32 v1, s22
	s_waitcnt vmcnt(0)
	global_atomic_add_x2 v[3:4], v[1:2], off offset:8
.LBB0_1006:                             ;   in Loop: Header=BB0_879 Depth=1
	s_or_b64 exec, exec, s[20:21]
	s_waitcnt vmcnt(0)
	global_load_dwordx2 v[7:8], v[3:4], off offset:16
	s_waitcnt vmcnt(0)
	v_cmp_eq_u64_e32 vcc, 0, v[7:8]
	s_cbranch_vccnz .LBB0_1008
; %bb.1007:                             ;   in Loop: Header=BB0_879 Depth=1
	global_load_dword v1, v[3:4], off offset:24
	s_waitcnt vmcnt(0)
	v_readfirstlane_b32 s20, v1
	s_and_b32 m0, s20, 0xffffff
	global_store_dwordx2 v[7:8], v[1:2], off
	s_sendmsg sendmsg(MSG_INTERRUPT)
.LBB0_1008:                             ;   in Loop: Header=BB0_879 Depth=1
	s_or_b64 exec, exec, s[18:19]
	v_add_co_u32_e32 v3, vcc, v17, v32
	v_addc_co_u32_e32 v4, vcc, 0, v18, vcc
	s_branch .LBB0_1012
.LBB0_1009:                             ;   in Loop: Header=BB0_1012 Depth=2
	s_or_b64 exec, exec, s[18:19]
	v_readfirstlane_b32 s18, v1
	s_cmp_eq_u32 s18, 0
	s_cbranch_scc1 .LBB0_1011
; %bb.1010:                             ;   in Loop: Header=BB0_1012 Depth=2
	s_sleep 1
	s_cbranch_execnz .LBB0_1012
	s_branch .LBB0_1014
.LBB0_1011:                             ;   in Loop: Header=BB0_879 Depth=1
	s_branch .LBB0_1014
.LBB0_1012:                             ;   Parent Loop BB0_879 Depth=1
                                        ; =>  This Inner Loop Header: Depth=2
	v_mov_b32_e32 v1, 1
	s_and_saveexec_b64 s[18:19], s[0:1]
	s_cbranch_execz .LBB0_1009
; %bb.1013:                             ;   in Loop: Header=BB0_1012 Depth=2
	global_load_dword v1, v[15:16], off offset:20 glc
	s_waitcnt vmcnt(0)
	buffer_wbinvl1_vol
	v_and_b32_e32 v1, 1, v1
	s_branch .LBB0_1009
.LBB0_1014:                             ;   in Loop: Header=BB0_879 Depth=1
	global_load_dwordx2 v[7:8], v[3:4], off
	s_and_saveexec_b64 s[18:19], s[0:1]
	s_cbranch_execz .LBB0_1018
; %bb.1015:                             ;   in Loop: Header=BB0_879 Depth=1
	global_load_dwordx2 v[3:4], v2, s[2:3] offset:40
	global_load_dwordx2 v[13:14], v2, s[2:3] offset:24 glc
	global_load_dwordx2 v[9:10], v2, s[2:3]
	s_waitcnt vmcnt(2)
	v_readfirstlane_b32 s20, v3
	v_readfirstlane_b32 s21, v4
	s_add_u32 s22, s20, 1
	s_addc_u32 s23, s21, 0
	s_add_u32 s0, s22, s14
	s_addc_u32 s1, s23, s15
	s_cmp_eq_u64 s[0:1], 0
	s_cselect_b32 s1, s23, s1
	s_cselect_b32 s0, s22, s0
	s_and_b64 s[14:15], s[0:1], s[20:21]
	s_mul_i32 s15, s15, 24
	s_mul_hi_u32 s20, s14, 24
	s_mul_i32 s14, s14, 24
	s_add_i32 s15, s20, s15
	v_mov_b32_e32 v1, s15
	s_waitcnt vmcnt(0)
	v_add_co_u32_e32 v3, vcc, s14, v9
	v_addc_co_u32_e32 v4, vcc, v10, v1, vcc
	v_mov_b32_e32 v11, s0
	global_store_dwordx2 v[3:4], v[13:14], off
	v_mov_b32_e32 v12, s1
	s_waitcnt vmcnt(0)
	global_atomic_cmpswap_x2 v[11:12], v2, v[11:14], s[2:3] offset:24 glc
	s_waitcnt vmcnt(0)
	v_cmp_ne_u64_e32 vcc, v[11:12], v[13:14]
	s_and_b64 exec, exec, vcc
	s_cbranch_execz .LBB0_1018
; %bb.1016:                             ;   in Loop: Header=BB0_879 Depth=1
	s_mov_b64 s[14:15], 0
.LBB0_1017:                             ;   Parent Loop BB0_879 Depth=1
                                        ; =>  This Inner Loop Header: Depth=2
	s_sleep 1
	global_store_dwordx2 v[3:4], v[11:12], off
	v_mov_b32_e32 v9, s0
	v_mov_b32_e32 v10, s1
	s_waitcnt vmcnt(0)
	global_atomic_cmpswap_x2 v[9:10], v2, v[9:12], s[2:3] offset:24 glc
	s_waitcnt vmcnt(0)
	v_cmp_eq_u64_e32 vcc, v[9:10], v[11:12]
	v_mov_b32_e32 v12, v10
	s_or_b64 s[14:15], vcc, s[14:15]
	v_mov_b32_e32 v11, v9
	s_andn2_b64 exec, exec, s[14:15]
	s_cbranch_execnz .LBB0_1017
.LBB0_1018:                             ;   in Loop: Header=BB0_879 Depth=1
	s_or_b64 exec, exec, s[18:19]
.LBB0_1019:                             ;   in Loop: Header=BB0_879 Depth=1
	s_and_b32 s18, s31, 1
	s_getpc_b64 s[0:1]
	s_add_u32 s0, s0, .str.4@rel32@lo+4
	s_addc_u32 s1, s1, .str.4@rel32@hi+12
	s_getpc_b64 s[14:15]
	s_add_u32 s14, s14, .str.3@rel32@lo+4
	s_addc_u32 s15, s15, .str.3@rel32@hi+12
	s_cmp_eq_u32 s18, 0
	s_cselect_b32 s15, s1, s15
	s_cselect_b32 s14, s0, s14
	s_cmp_lg_u64 s[14:15], 0
	s_cselect_b64 s[0:1], -1, 0
	s_cmp_eq_u64 s[14:15], 0
	s_mov_b64 s[18:19], 0
	s_cbranch_scc1 .LBB0_1023
; %bb.1020:                             ;   in Loop: Header=BB0_879 Depth=1
	s_add_u32 s18, s14, -1
	s_addc_u32 s19, s15, -1
.LBB0_1021:                             ;   Parent Loop BB0_879 Depth=1
                                        ; =>  This Inner Loop Header: Depth=2
	global_load_ubyte v1, v2, s[18:19] offset:1
	s_add_u32 s20, s18, 1
	s_addc_u32 s21, s19, 0
	s_mov_b64 s[18:19], s[20:21]
	s_waitcnt vmcnt(0)
	v_cmp_ne_u32_e32 vcc, 0, v1
	s_cbranch_vccnz .LBB0_1021
; %bb.1022:                             ;   in Loop: Header=BB0_879 Depth=1
	s_sub_u32 s18, s20, s14
	s_subb_u32 s19, s21, s15
	s_add_u32 s18, s18, 1
	s_addc_u32 s19, s19, 0
.LBB0_1023:                             ;   in Loop: Header=BB0_879 Depth=1
	s_and_b64 vcc, exec, s[0:1]
	s_cbranch_vccz .LBB0_1109
; %bb.1024:                             ;   in Loop: Header=BB0_879 Depth=1
	s_waitcnt vmcnt(0)
	v_and_b32_e32 v9, -3, v7
	v_mov_b32_e32 v10, v8
	s_branch .LBB0_1026
.LBB0_1025:                             ;   in Loop: Header=BB0_1026 Depth=2
	s_or_b64 exec, exec, s[24:25]
	s_sub_u32 s18, s18, s20
	s_subb_u32 s19, s19, s21
	s_add_u32 s14, s14, s20
	s_addc_u32 s15, s15, s21
	s_cmp_lg_u64 s[18:19], 0
	s_cbranch_scc0 .LBB0_1108
.LBB0_1026:                             ;   Parent Loop BB0_879 Depth=1
                                        ; =>  This Loop Header: Depth=2
                                        ;       Child Loop BB0_1029 Depth 3
                                        ;       Child Loop BB0_1037 Depth 3
	;; [unrolled: 1-line block ×11, first 2 shown]
	v_cmp_lt_u64_e64 s[0:1], s[18:19], 56
	v_cmp_gt_u64_e64 s[22:23], s[18:19], 7
	s_and_b64 s[0:1], s[0:1], exec
	s_cselect_b32 s21, s19, 0
	s_cselect_b32 s20, s18, 56
	s_add_u32 s0, s14, 8
	s_addc_u32 s1, s15, 0
	s_and_b64 vcc, exec, s[22:23]
	s_cbranch_vccnz .LBB0_1030
; %bb.1027:                             ;   in Loop: Header=BB0_1026 Depth=2
	s_cmp_eq_u64 s[18:19], 0
	s_cbranch_scc1 .LBB0_1031
; %bb.1028:                             ;   in Loop: Header=BB0_1026 Depth=2
	v_mov_b32_e32 v11, 0
	s_lshl_b64 s[0:1], s[20:21], 3
	s_mov_b64 s[22:23], 0
	v_mov_b32_e32 v12, 0
	s_mov_b64 s[24:25], s[14:15]
.LBB0_1029:                             ;   Parent Loop BB0_879 Depth=1
                                        ;     Parent Loop BB0_1026 Depth=2
                                        ; =>    This Inner Loop Header: Depth=3
	global_load_ubyte v1, v2, s[24:25]
	s_waitcnt vmcnt(0)
	v_and_b32_e32 v1, 0xffff, v1
	v_lshlrev_b64 v[3:4], s22, v[1:2]
	s_add_u32 s22, s22, 8
	s_addc_u32 s23, s23, 0
	s_add_u32 s24, s24, 1
	s_addc_u32 s25, s25, 0
	v_or_b32_e32 v11, v3, v11
	s_cmp_lg_u32 s0, s22
	v_or_b32_e32 v12, v4, v12
	s_cbranch_scc1 .LBB0_1029
	s_branch .LBB0_1032
.LBB0_1030:                             ;   in Loop: Header=BB0_1026 Depth=2
	s_mov_b32 s26, 0
	s_branch .LBB0_1033
.LBB0_1031:                             ;   in Loop: Header=BB0_1026 Depth=2
	v_mov_b32_e32 v11, 0
	v_mov_b32_e32 v12, 0
.LBB0_1032:                             ;   in Loop: Header=BB0_1026 Depth=2
	s_mov_b64 s[0:1], s[14:15]
	s_mov_b32 s26, 0
	s_cbranch_execnz .LBB0_1034
.LBB0_1033:                             ;   in Loop: Header=BB0_1026 Depth=2
	global_load_dwordx2 v[11:12], v2, s[14:15]
	s_add_i32 s26, s20, -8
.LBB0_1034:                             ;   in Loop: Header=BB0_1026 Depth=2
	s_add_u32 s22, s0, 8
	s_addc_u32 s23, s1, 0
	s_cmp_gt_u32 s26, 7
	s_cbranch_scc1 .LBB0_1038
; %bb.1035:                             ;   in Loop: Header=BB0_1026 Depth=2
	s_cmp_eq_u32 s26, 0
	s_cbranch_scc1 .LBB0_1039
; %bb.1036:                             ;   in Loop: Header=BB0_1026 Depth=2
	v_mov_b32_e32 v13, 0
	s_mov_b64 s[22:23], 0
	v_mov_b32_e32 v14, 0
	s_mov_b64 s[24:25], 0
.LBB0_1037:                             ;   Parent Loop BB0_879 Depth=1
                                        ;     Parent Loop BB0_1026 Depth=2
                                        ; =>    This Inner Loop Header: Depth=3
	s_add_u32 s28, s0, s24
	s_addc_u32 s29, s1, s25
	global_load_ubyte v1, v2, s[28:29]
	s_add_u32 s24, s24, 1
	s_addc_u32 s25, s25, 0
	s_waitcnt vmcnt(0)
	v_and_b32_e32 v1, 0xffff, v1
	v_lshlrev_b64 v[3:4], s22, v[1:2]
	s_add_u32 s22, s22, 8
	s_addc_u32 s23, s23, 0
	v_or_b32_e32 v13, v3, v13
	s_cmp_lg_u32 s26, s24
	v_or_b32_e32 v14, v4, v14
	s_cbranch_scc1 .LBB0_1037
	s_branch .LBB0_1040
.LBB0_1038:                             ;   in Loop: Header=BB0_1026 Depth=2
                                        ; implicit-def: $vgpr13_vgpr14
	s_mov_b32 s27, 0
	s_branch .LBB0_1041
.LBB0_1039:                             ;   in Loop: Header=BB0_1026 Depth=2
	v_mov_b32_e32 v13, 0
	v_mov_b32_e32 v14, 0
.LBB0_1040:                             ;   in Loop: Header=BB0_1026 Depth=2
	s_mov_b64 s[22:23], s[0:1]
	s_mov_b32 s27, 0
	s_cbranch_execnz .LBB0_1042
.LBB0_1041:                             ;   in Loop: Header=BB0_1026 Depth=2
	global_load_dwordx2 v[13:14], v2, s[0:1]
	s_add_i32 s27, s26, -8
.LBB0_1042:                             ;   in Loop: Header=BB0_1026 Depth=2
	s_add_u32 s0, s22, 8
	s_addc_u32 s1, s23, 0
	s_cmp_gt_u32 s27, 7
	s_cbranch_scc1 .LBB0_1046
; %bb.1043:                             ;   in Loop: Header=BB0_1026 Depth=2
	s_cmp_eq_u32 s27, 0
	s_cbranch_scc1 .LBB0_1047
; %bb.1044:                             ;   in Loop: Header=BB0_1026 Depth=2
	v_mov_b32_e32 v15, 0
	s_mov_b64 s[0:1], 0
	v_mov_b32_e32 v16, 0
	s_mov_b64 s[24:25], 0
.LBB0_1045:                             ;   Parent Loop BB0_879 Depth=1
                                        ;     Parent Loop BB0_1026 Depth=2
                                        ; =>    This Inner Loop Header: Depth=3
	s_add_u32 s28, s22, s24
	s_addc_u32 s29, s23, s25
	global_load_ubyte v1, v2, s[28:29]
	s_add_u32 s24, s24, 1
	s_addc_u32 s25, s25, 0
	s_waitcnt vmcnt(0)
	v_and_b32_e32 v1, 0xffff, v1
	v_lshlrev_b64 v[3:4], s0, v[1:2]
	s_add_u32 s0, s0, 8
	s_addc_u32 s1, s1, 0
	v_or_b32_e32 v15, v3, v15
	s_cmp_lg_u32 s27, s24
	v_or_b32_e32 v16, v4, v16
	s_cbranch_scc1 .LBB0_1045
	s_branch .LBB0_1048
.LBB0_1046:                             ;   in Loop: Header=BB0_1026 Depth=2
	s_mov_b32 s26, 0
	s_branch .LBB0_1049
.LBB0_1047:                             ;   in Loop: Header=BB0_1026 Depth=2
	v_mov_b32_e32 v15, 0
	v_mov_b32_e32 v16, 0
.LBB0_1048:                             ;   in Loop: Header=BB0_1026 Depth=2
	s_mov_b64 s[0:1], s[22:23]
	s_mov_b32 s26, 0
	s_cbranch_execnz .LBB0_1050
.LBB0_1049:                             ;   in Loop: Header=BB0_1026 Depth=2
	global_load_dwordx2 v[15:16], v2, s[22:23]
	s_add_i32 s26, s27, -8
.LBB0_1050:                             ;   in Loop: Header=BB0_1026 Depth=2
	s_add_u32 s22, s0, 8
	s_addc_u32 s23, s1, 0
	s_cmp_gt_u32 s26, 7
	s_cbranch_scc1 .LBB0_1054
; %bb.1051:                             ;   in Loop: Header=BB0_1026 Depth=2
	s_cmp_eq_u32 s26, 0
	s_cbranch_scc1 .LBB0_1055
; %bb.1052:                             ;   in Loop: Header=BB0_1026 Depth=2
	v_mov_b32_e32 v17, 0
	s_mov_b64 s[22:23], 0
	v_mov_b32_e32 v18, 0
	s_mov_b64 s[24:25], 0
.LBB0_1053:                             ;   Parent Loop BB0_879 Depth=1
                                        ;     Parent Loop BB0_1026 Depth=2
                                        ; =>    This Inner Loop Header: Depth=3
	s_add_u32 s28, s0, s24
	s_addc_u32 s29, s1, s25
	global_load_ubyte v1, v2, s[28:29]
	s_add_u32 s24, s24, 1
	s_addc_u32 s25, s25, 0
	s_waitcnt vmcnt(0)
	v_and_b32_e32 v1, 0xffff, v1
	v_lshlrev_b64 v[3:4], s22, v[1:2]
	s_add_u32 s22, s22, 8
	s_addc_u32 s23, s23, 0
	v_or_b32_e32 v17, v3, v17
	s_cmp_lg_u32 s26, s24
	v_or_b32_e32 v18, v4, v18
	s_cbranch_scc1 .LBB0_1053
	s_branch .LBB0_1056
.LBB0_1054:                             ;   in Loop: Header=BB0_1026 Depth=2
                                        ; implicit-def: $vgpr17_vgpr18
	s_mov_b32 s27, 0
	s_branch .LBB0_1057
.LBB0_1055:                             ;   in Loop: Header=BB0_1026 Depth=2
	v_mov_b32_e32 v17, 0
	v_mov_b32_e32 v18, 0
.LBB0_1056:                             ;   in Loop: Header=BB0_1026 Depth=2
	s_mov_b64 s[22:23], s[0:1]
	s_mov_b32 s27, 0
	s_cbranch_execnz .LBB0_1058
.LBB0_1057:                             ;   in Loop: Header=BB0_1026 Depth=2
	global_load_dwordx2 v[17:18], v2, s[0:1]
	s_add_i32 s27, s26, -8
.LBB0_1058:                             ;   in Loop: Header=BB0_1026 Depth=2
	s_add_u32 s0, s22, 8
	s_addc_u32 s1, s23, 0
	s_cmp_gt_u32 s27, 7
	s_cbranch_scc1 .LBB0_1062
; %bb.1059:                             ;   in Loop: Header=BB0_1026 Depth=2
	s_cmp_eq_u32 s27, 0
	s_cbranch_scc1 .LBB0_1063
; %bb.1060:                             ;   in Loop: Header=BB0_1026 Depth=2
	v_mov_b32_e32 v19, 0
	s_mov_b64 s[0:1], 0
	v_mov_b32_e32 v20, 0
	s_mov_b64 s[24:25], 0
.LBB0_1061:                             ;   Parent Loop BB0_879 Depth=1
                                        ;     Parent Loop BB0_1026 Depth=2
                                        ; =>    This Inner Loop Header: Depth=3
	s_add_u32 s28, s22, s24
	s_addc_u32 s29, s23, s25
	global_load_ubyte v1, v2, s[28:29]
	s_add_u32 s24, s24, 1
	s_addc_u32 s25, s25, 0
	s_waitcnt vmcnt(0)
	v_and_b32_e32 v1, 0xffff, v1
	v_lshlrev_b64 v[3:4], s0, v[1:2]
	s_add_u32 s0, s0, 8
	s_addc_u32 s1, s1, 0
	v_or_b32_e32 v19, v3, v19
	s_cmp_lg_u32 s27, s24
	v_or_b32_e32 v20, v4, v20
	s_cbranch_scc1 .LBB0_1061
	s_branch .LBB0_1064
.LBB0_1062:                             ;   in Loop: Header=BB0_1026 Depth=2
	s_mov_b32 s26, 0
	s_branch .LBB0_1065
.LBB0_1063:                             ;   in Loop: Header=BB0_1026 Depth=2
	v_mov_b32_e32 v19, 0
	v_mov_b32_e32 v20, 0
.LBB0_1064:                             ;   in Loop: Header=BB0_1026 Depth=2
	s_mov_b64 s[0:1], s[22:23]
	s_mov_b32 s26, 0
	s_cbranch_execnz .LBB0_1066
.LBB0_1065:                             ;   in Loop: Header=BB0_1026 Depth=2
	global_load_dwordx2 v[19:20], v2, s[22:23]
	s_add_i32 s26, s27, -8
.LBB0_1066:                             ;   in Loop: Header=BB0_1026 Depth=2
	s_add_u32 s22, s0, 8
	s_addc_u32 s23, s1, 0
	s_cmp_gt_u32 s26, 7
	s_cbranch_scc1 .LBB0_1070
; %bb.1067:                             ;   in Loop: Header=BB0_1026 Depth=2
	s_cmp_eq_u32 s26, 0
	s_cbranch_scc1 .LBB0_1071
; %bb.1068:                             ;   in Loop: Header=BB0_1026 Depth=2
	v_mov_b32_e32 v21, 0
	s_mov_b64 s[22:23], 0
	v_mov_b32_e32 v22, 0
	s_mov_b64 s[24:25], 0
.LBB0_1069:                             ;   Parent Loop BB0_879 Depth=1
                                        ;     Parent Loop BB0_1026 Depth=2
                                        ; =>    This Inner Loop Header: Depth=3
	s_add_u32 s28, s0, s24
	s_addc_u32 s29, s1, s25
	global_load_ubyte v1, v2, s[28:29]
	s_add_u32 s24, s24, 1
	s_addc_u32 s25, s25, 0
	s_waitcnt vmcnt(0)
	v_and_b32_e32 v1, 0xffff, v1
	v_lshlrev_b64 v[3:4], s22, v[1:2]
	s_add_u32 s22, s22, 8
	s_addc_u32 s23, s23, 0
	v_or_b32_e32 v21, v3, v21
	s_cmp_lg_u32 s26, s24
	v_or_b32_e32 v22, v4, v22
	s_cbranch_scc1 .LBB0_1069
	s_branch .LBB0_1072
.LBB0_1070:                             ;   in Loop: Header=BB0_1026 Depth=2
                                        ; implicit-def: $vgpr21_vgpr22
	s_mov_b32 s27, 0
	s_branch .LBB0_1073
.LBB0_1071:                             ;   in Loop: Header=BB0_1026 Depth=2
	v_mov_b32_e32 v21, 0
	v_mov_b32_e32 v22, 0
.LBB0_1072:                             ;   in Loop: Header=BB0_1026 Depth=2
	s_mov_b64 s[22:23], s[0:1]
	s_mov_b32 s27, 0
	s_cbranch_execnz .LBB0_1074
.LBB0_1073:                             ;   in Loop: Header=BB0_1026 Depth=2
	global_load_dwordx2 v[21:22], v2, s[0:1]
	s_add_i32 s27, s26, -8
.LBB0_1074:                             ;   in Loop: Header=BB0_1026 Depth=2
	s_cmp_gt_u32 s27, 7
	s_cbranch_scc1 .LBB0_1078
; %bb.1075:                             ;   in Loop: Header=BB0_1026 Depth=2
	s_cmp_eq_u32 s27, 0
	s_cbranch_scc1 .LBB0_1079
; %bb.1076:                             ;   in Loop: Header=BB0_1026 Depth=2
	v_mov_b32_e32 v23, 0
	s_mov_b64 s[0:1], 0
	v_mov_b32_e32 v24, 0
	s_mov_b64 s[24:25], s[22:23]
.LBB0_1077:                             ;   Parent Loop BB0_879 Depth=1
                                        ;     Parent Loop BB0_1026 Depth=2
                                        ; =>    This Inner Loop Header: Depth=3
	global_load_ubyte v1, v2, s[24:25]
	s_add_i32 s27, s27, -1
	s_waitcnt vmcnt(0)
	v_and_b32_e32 v1, 0xffff, v1
	v_lshlrev_b64 v[3:4], s0, v[1:2]
	s_add_u32 s0, s0, 8
	s_addc_u32 s1, s1, 0
	s_add_u32 s24, s24, 1
	s_addc_u32 s25, s25, 0
	v_or_b32_e32 v23, v3, v23
	s_cmp_lg_u32 s27, 0
	v_or_b32_e32 v24, v4, v24
	s_cbranch_scc1 .LBB0_1077
	s_branch .LBB0_1080
.LBB0_1078:                             ;   in Loop: Header=BB0_1026 Depth=2
	s_branch .LBB0_1081
.LBB0_1079:                             ;   in Loop: Header=BB0_1026 Depth=2
	v_mov_b32_e32 v23, 0
	v_mov_b32_e32 v24, 0
.LBB0_1080:                             ;   in Loop: Header=BB0_1026 Depth=2
	s_cbranch_execnz .LBB0_1082
.LBB0_1081:                             ;   in Loop: Header=BB0_1026 Depth=2
	global_load_dwordx2 v[23:24], v2, s[22:23]
.LBB0_1082:                             ;   in Loop: Header=BB0_1026 Depth=2
	v_readfirstlane_b32 s0, v31
	v_mov_b32_e32 v3, 0
	v_mov_b32_e32 v4, 0
	v_cmp_eq_u32_e64 s[0:1], s0, v31
	s_and_saveexec_b64 s[22:23], s[0:1]
	s_cbranch_execz .LBB0_1088
; %bb.1083:                             ;   in Loop: Header=BB0_1026 Depth=2
	global_load_dwordx2 v[27:28], v2, s[2:3] offset:24 glc
	s_waitcnt vmcnt(0)
	buffer_wbinvl1_vol
	global_load_dwordx2 v[3:4], v2, s[2:3] offset:40
	global_load_dwordx2 v[25:26], v2, s[2:3]
	s_waitcnt vmcnt(1)
	v_and_b32_e32 v1, v3, v27
	v_and_b32_e32 v3, v4, v28
	v_mul_lo_u32 v3, v3, 24
	v_mul_hi_u32 v4, v1, 24
	v_mul_lo_u32 v1, v1, 24
	v_add_u32_e32 v4, v4, v3
	s_waitcnt vmcnt(0)
	v_add_co_u32_e32 v3, vcc, v25, v1
	v_addc_co_u32_e32 v4, vcc, v26, v4, vcc
	global_load_dwordx2 v[25:26], v[3:4], off glc
	s_waitcnt vmcnt(0)
	global_atomic_cmpswap_x2 v[3:4], v2, v[25:28], s[2:3] offset:24 glc
	s_waitcnt vmcnt(0)
	buffer_wbinvl1_vol
	v_cmp_ne_u64_e32 vcc, v[3:4], v[27:28]
	s_and_saveexec_b64 s[24:25], vcc
	s_cbranch_execz .LBB0_1087
; %bb.1084:                             ;   in Loop: Header=BB0_1026 Depth=2
	s_mov_b64 s[26:27], 0
.LBB0_1085:                             ;   Parent Loop BB0_879 Depth=1
                                        ;     Parent Loop BB0_1026 Depth=2
                                        ; =>    This Inner Loop Header: Depth=3
	s_sleep 1
	global_load_dwordx2 v[25:26], v2, s[2:3] offset:40
	global_load_dwordx2 v[29:30], v2, s[2:3]
	v_mov_b32_e32 v28, v4
	v_mov_b32_e32 v27, v3
	s_waitcnt vmcnt(1)
	v_and_b32_e32 v1, v25, v27
	s_waitcnt vmcnt(0)
	v_mad_u64_u32 v[3:4], s[28:29], v1, 24, v[29:30]
	v_and_b32_e32 v25, v26, v28
	v_mov_b32_e32 v1, v4
	v_mad_u64_u32 v[25:26], s[28:29], v25, 24, v[1:2]
	v_mov_b32_e32 v4, v25
	global_load_dwordx2 v[25:26], v[3:4], off glc
	s_waitcnt vmcnt(0)
	global_atomic_cmpswap_x2 v[3:4], v2, v[25:28], s[2:3] offset:24 glc
	s_waitcnt vmcnt(0)
	buffer_wbinvl1_vol
	v_cmp_eq_u64_e32 vcc, v[3:4], v[27:28]
	s_or_b64 s[26:27], vcc, s[26:27]
	s_andn2_b64 exec, exec, s[26:27]
	s_cbranch_execnz .LBB0_1085
; %bb.1086:                             ;   in Loop: Header=BB0_1026 Depth=2
	s_or_b64 exec, exec, s[26:27]
.LBB0_1087:                             ;   in Loop: Header=BB0_1026 Depth=2
	s_or_b64 exec, exec, s[24:25]
.LBB0_1088:                             ;   in Loop: Header=BB0_1026 Depth=2
	s_or_b64 exec, exec, s[22:23]
	global_load_dwordx2 v[29:30], v2, s[2:3] offset:40
	global_load_dwordx4 v[25:28], v2, s[2:3]
	v_readfirstlane_b32 s23, v4
	v_readfirstlane_b32 s22, v3
	s_mov_b64 s[24:25], exec
	s_waitcnt vmcnt(1)
	v_readfirstlane_b32 s26, v29
	v_readfirstlane_b32 s27, v30
	s_and_b64 s[26:27], s[26:27], s[22:23]
	s_mul_i32 s28, s27, 24
	s_mul_hi_u32 s29, s26, 24
	s_mul_i32 s33, s26, 24
	s_add_i32 s28, s29, s28
	v_mov_b32_e32 v1, s28
	s_waitcnt vmcnt(0)
	v_add_co_u32_e32 v29, vcc, s33, v25
	v_addc_co_u32_e32 v30, vcc, v26, v1, vcc
	s_and_saveexec_b64 s[28:29], s[0:1]
	s_cbranch_execz .LBB0_1090
; %bb.1089:                             ;   in Loop: Header=BB0_1026 Depth=2
	v_mov_b32_e32 v3, s24
	v_mov_b32_e32 v4, s25
	global_store_dwordx4 v[29:30], v[3:6], off offset:8
.LBB0_1090:                             ;   in Loop: Header=BB0_1026 Depth=2
	s_or_b64 exec, exec, s[28:29]
	s_lshl_b64 s[24:25], s[26:27], 12
	v_mov_b32_e32 v1, s25
	v_add_co_u32_e32 v27, vcc, s24, v27
	v_addc_co_u32_e32 v28, vcc, v28, v1, vcc
	v_cmp_lt_u64_e64 vcc, s[18:19], 57
	v_and_b32_e32 v1, 2, v7
	s_lshl_b32 s24, s20, 2
	v_cndmask_b32_e32 v1, 0, v1, vcc
	s_add_i32 s24, s24, 28
	v_and_b32_e32 v3, 0xffffff1f, v9
	s_and_b32 s24, s24, 0x1e0
	v_or_b32_e32 v1, v3, v1
	v_or_b32_e32 v9, s24, v1
	v_readfirstlane_b32 s24, v27
	v_readfirstlane_b32 s25, v28
	s_nop 4
	global_store_dwordx4 v32, v[9:12], s[24:25]
	global_store_dwordx4 v32, v[13:16], s[24:25] offset:16
	global_store_dwordx4 v32, v[17:20], s[24:25] offset:32
	;; [unrolled: 1-line block ×3, first 2 shown]
	s_and_saveexec_b64 s[24:25], s[0:1]
	s_cbranch_execz .LBB0_1098
; %bb.1091:                             ;   in Loop: Header=BB0_1026 Depth=2
	global_load_dwordx2 v[13:14], v2, s[2:3] offset:32 glc
	global_load_dwordx2 v[3:4], v2, s[2:3] offset:40
	v_mov_b32_e32 v11, s22
	v_mov_b32_e32 v12, s23
	s_waitcnt vmcnt(0)
	v_readfirstlane_b32 s26, v3
	v_readfirstlane_b32 s27, v4
	s_and_b64 s[26:27], s[26:27], s[22:23]
	s_mul_i32 s27, s27, 24
	s_mul_hi_u32 s28, s26, 24
	s_mul_i32 s26, s26, 24
	s_add_i32 s27, s28, s27
	v_mov_b32_e32 v1, s27
	v_add_co_u32_e32 v3, vcc, s26, v25
	v_addc_co_u32_e32 v4, vcc, v26, v1, vcc
	global_store_dwordx2 v[3:4], v[13:14], off
	s_waitcnt vmcnt(0)
	global_atomic_cmpswap_x2 v[11:12], v2, v[11:14], s[2:3] offset:32 glc
	s_waitcnt vmcnt(0)
	v_cmp_ne_u64_e32 vcc, v[11:12], v[13:14]
	s_and_saveexec_b64 s[26:27], vcc
	s_cbranch_execz .LBB0_1094
; %bb.1092:                             ;   in Loop: Header=BB0_1026 Depth=2
	s_mov_b64 s[28:29], 0
.LBB0_1093:                             ;   Parent Loop BB0_879 Depth=1
                                        ;     Parent Loop BB0_1026 Depth=2
                                        ; =>    This Inner Loop Header: Depth=3
	s_sleep 1
	global_store_dwordx2 v[3:4], v[11:12], off
	v_mov_b32_e32 v9, s22
	v_mov_b32_e32 v10, s23
	s_waitcnt vmcnt(0)
	global_atomic_cmpswap_x2 v[9:10], v2, v[9:12], s[2:3] offset:32 glc
	s_waitcnt vmcnt(0)
	v_cmp_eq_u64_e32 vcc, v[9:10], v[11:12]
	v_mov_b32_e32 v12, v10
	s_or_b64 s[28:29], vcc, s[28:29]
	v_mov_b32_e32 v11, v9
	s_andn2_b64 exec, exec, s[28:29]
	s_cbranch_execnz .LBB0_1093
.LBB0_1094:                             ;   in Loop: Header=BB0_1026 Depth=2
	s_or_b64 exec, exec, s[26:27]
	global_load_dwordx2 v[3:4], v2, s[2:3] offset:16
	s_mov_b64 s[28:29], exec
	v_mbcnt_lo_u32_b32 v1, s28, 0
	v_mbcnt_hi_u32_b32 v1, s29, v1
	v_cmp_eq_u32_e32 vcc, 0, v1
	s_and_saveexec_b64 s[26:27], vcc
	s_cbranch_execz .LBB0_1096
; %bb.1095:                             ;   in Loop: Header=BB0_1026 Depth=2
	s_bcnt1_i32_b64 s28, s[28:29]
	v_mov_b32_e32 v1, s28
	s_waitcnt vmcnt(0)
	global_atomic_add_x2 v[3:4], v[1:2], off offset:8
.LBB0_1096:                             ;   in Loop: Header=BB0_1026 Depth=2
	s_or_b64 exec, exec, s[26:27]
	s_waitcnt vmcnt(0)
	global_load_dwordx2 v[9:10], v[3:4], off offset:16
	s_waitcnt vmcnt(0)
	v_cmp_eq_u64_e32 vcc, 0, v[9:10]
	s_cbranch_vccnz .LBB0_1098
; %bb.1097:                             ;   in Loop: Header=BB0_1026 Depth=2
	global_load_dword v1, v[3:4], off offset:24
	s_waitcnt vmcnt(0)
	v_readfirstlane_b32 s26, v1
	s_and_b32 m0, s26, 0xffffff
	global_store_dwordx2 v[9:10], v[1:2], off
	s_sendmsg sendmsg(MSG_INTERRUPT)
.LBB0_1098:                             ;   in Loop: Header=BB0_1026 Depth=2
	s_or_b64 exec, exec, s[24:25]
	v_add_co_u32_e32 v3, vcc, v27, v32
	v_addc_co_u32_e32 v4, vcc, 0, v28, vcc
	s_branch .LBB0_1102
.LBB0_1099:                             ;   in Loop: Header=BB0_1102 Depth=3
	s_or_b64 exec, exec, s[24:25]
	v_readfirstlane_b32 s24, v1
	s_cmp_eq_u32 s24, 0
	s_cbranch_scc1 .LBB0_1101
; %bb.1100:                             ;   in Loop: Header=BB0_1102 Depth=3
	s_sleep 1
	s_cbranch_execnz .LBB0_1102
	s_branch .LBB0_1104
.LBB0_1101:                             ;   in Loop: Header=BB0_1026 Depth=2
	s_branch .LBB0_1104
.LBB0_1102:                             ;   Parent Loop BB0_879 Depth=1
                                        ;     Parent Loop BB0_1026 Depth=2
                                        ; =>    This Inner Loop Header: Depth=3
	v_mov_b32_e32 v1, 1
	s_and_saveexec_b64 s[24:25], s[0:1]
	s_cbranch_execz .LBB0_1099
; %bb.1103:                             ;   in Loop: Header=BB0_1102 Depth=3
	global_load_dword v1, v[29:30], off offset:20 glc
	s_waitcnt vmcnt(0)
	buffer_wbinvl1_vol
	v_and_b32_e32 v1, 1, v1
	s_branch .LBB0_1099
.LBB0_1104:                             ;   in Loop: Header=BB0_1026 Depth=2
	global_load_dwordx2 v[9:10], v[3:4], off
	s_and_saveexec_b64 s[24:25], s[0:1]
	s_cbranch_execz .LBB0_1025
; %bb.1105:                             ;   in Loop: Header=BB0_1026 Depth=2
	global_load_dwordx2 v[3:4], v2, s[2:3] offset:40
	global_load_dwordx2 v[15:16], v2, s[2:3] offset:24 glc
	global_load_dwordx2 v[11:12], v2, s[2:3]
	s_waitcnt vmcnt(2)
	v_readfirstlane_b32 s26, v3
	v_readfirstlane_b32 s27, v4
	s_add_u32 s28, s26, 1
	s_addc_u32 s29, s27, 0
	s_add_u32 s0, s28, s22
	s_addc_u32 s1, s29, s23
	s_cmp_eq_u64 s[0:1], 0
	s_cselect_b32 s1, s29, s1
	s_cselect_b32 s0, s28, s0
	s_and_b64 s[22:23], s[0:1], s[26:27]
	s_mul_i32 s23, s23, 24
	s_mul_hi_u32 s26, s22, 24
	s_mul_i32 s22, s22, 24
	s_add_i32 s23, s26, s23
	v_mov_b32_e32 v1, s23
	s_waitcnt vmcnt(0)
	v_add_co_u32_e32 v3, vcc, s22, v11
	v_addc_co_u32_e32 v4, vcc, v12, v1, vcc
	v_mov_b32_e32 v13, s0
	global_store_dwordx2 v[3:4], v[15:16], off
	v_mov_b32_e32 v14, s1
	s_waitcnt vmcnt(0)
	global_atomic_cmpswap_x2 v[13:14], v2, v[13:16], s[2:3] offset:24 glc
	s_waitcnt vmcnt(0)
	v_cmp_ne_u64_e32 vcc, v[13:14], v[15:16]
	s_and_b64 exec, exec, vcc
	s_cbranch_execz .LBB0_1025
; %bb.1106:                             ;   in Loop: Header=BB0_1026 Depth=2
	s_mov_b64 s[22:23], 0
.LBB0_1107:                             ;   Parent Loop BB0_879 Depth=1
                                        ;     Parent Loop BB0_1026 Depth=2
                                        ; =>    This Inner Loop Header: Depth=3
	s_sleep 1
	global_store_dwordx2 v[3:4], v[13:14], off
	v_mov_b32_e32 v11, s0
	v_mov_b32_e32 v12, s1
	s_waitcnt vmcnt(0)
	global_atomic_cmpswap_x2 v[11:12], v2, v[11:14], s[2:3] offset:24 glc
	s_waitcnt vmcnt(0)
	v_cmp_eq_u64_e32 vcc, v[11:12], v[13:14]
	v_mov_b32_e32 v14, v12
	s_or_b64 s[22:23], vcc, s[22:23]
	v_mov_b32_e32 v13, v11
	s_andn2_b64 exec, exec, s[22:23]
	s_cbranch_execnz .LBB0_1107
	s_branch .LBB0_1025
.LBB0_1108:                             ;   in Loop: Header=BB0_879 Depth=1
	s_branch .LBB0_1137
.LBB0_1109:                             ;   in Loop: Header=BB0_879 Depth=1
                                        ; implicit-def: $vgpr9_vgpr10
	s_cbranch_execz .LBB0_1137
; %bb.1110:                             ;   in Loop: Header=BB0_879 Depth=1
	v_readfirstlane_b32 s0, v31
	v_mov_b32_e32 v3, 0
	v_mov_b32_e32 v4, 0
	v_cmp_eq_u32_e64 s[0:1], s0, v31
	s_and_saveexec_b64 s[14:15], s[0:1]
	s_cbranch_execz .LBB0_1116
; %bb.1111:                             ;   in Loop: Header=BB0_879 Depth=1
	global_load_dwordx2 v[11:12], v2, s[2:3] offset:24 glc
	s_waitcnt vmcnt(0)
	buffer_wbinvl1_vol
	global_load_dwordx2 v[3:4], v2, s[2:3] offset:40
	global_load_dwordx2 v[9:10], v2, s[2:3]
	s_waitcnt vmcnt(1)
	v_and_b32_e32 v1, v3, v11
	v_and_b32_e32 v3, v4, v12
	v_mul_lo_u32 v3, v3, 24
	v_mul_hi_u32 v4, v1, 24
	v_mul_lo_u32 v1, v1, 24
	v_add_u32_e32 v4, v4, v3
	s_waitcnt vmcnt(0)
	v_add_co_u32_e32 v3, vcc, v9, v1
	v_addc_co_u32_e32 v4, vcc, v10, v4, vcc
	global_load_dwordx2 v[9:10], v[3:4], off glc
	s_waitcnt vmcnt(0)
	global_atomic_cmpswap_x2 v[3:4], v2, v[9:12], s[2:3] offset:24 glc
	s_waitcnt vmcnt(0)
	buffer_wbinvl1_vol
	v_cmp_ne_u64_e32 vcc, v[3:4], v[11:12]
	s_and_saveexec_b64 s[18:19], vcc
	s_cbranch_execz .LBB0_1115
; %bb.1112:                             ;   in Loop: Header=BB0_879 Depth=1
	s_mov_b64 s[20:21], 0
.LBB0_1113:                             ;   Parent Loop BB0_879 Depth=1
                                        ; =>  This Inner Loop Header: Depth=2
	s_sleep 1
	global_load_dwordx2 v[9:10], v2, s[2:3] offset:40
	global_load_dwordx2 v[13:14], v2, s[2:3]
	v_mov_b32_e32 v12, v4
	v_mov_b32_e32 v11, v3
	s_waitcnt vmcnt(1)
	v_and_b32_e32 v1, v9, v11
	s_waitcnt vmcnt(0)
	v_mad_u64_u32 v[3:4], s[22:23], v1, 24, v[13:14]
	v_and_b32_e32 v9, v10, v12
	v_mov_b32_e32 v1, v4
	v_mad_u64_u32 v[9:10], s[22:23], v9, 24, v[1:2]
	v_mov_b32_e32 v4, v9
	global_load_dwordx2 v[9:10], v[3:4], off glc
	s_waitcnt vmcnt(0)
	global_atomic_cmpswap_x2 v[3:4], v2, v[9:12], s[2:3] offset:24 glc
	s_waitcnt vmcnt(0)
	buffer_wbinvl1_vol
	v_cmp_eq_u64_e32 vcc, v[3:4], v[11:12]
	s_or_b64 s[20:21], vcc, s[20:21]
	s_andn2_b64 exec, exec, s[20:21]
	s_cbranch_execnz .LBB0_1113
; %bb.1114:                             ;   in Loop: Header=BB0_879 Depth=1
	s_or_b64 exec, exec, s[20:21]
.LBB0_1115:                             ;   in Loop: Header=BB0_879 Depth=1
	s_or_b64 exec, exec, s[18:19]
.LBB0_1116:                             ;   in Loop: Header=BB0_879 Depth=1
	s_or_b64 exec, exec, s[14:15]
	global_load_dwordx2 v[9:10], v2, s[2:3] offset:40
	global_load_dwordx4 v[11:14], v2, s[2:3]
	v_readfirstlane_b32 s15, v4
	v_readfirstlane_b32 s14, v3
	s_mov_b64 s[18:19], exec
	s_waitcnt vmcnt(1)
	v_readfirstlane_b32 s20, v9
	v_readfirstlane_b32 s21, v10
	s_and_b64 s[20:21], s[20:21], s[14:15]
	s_mul_i32 s22, s21, 24
	s_mul_hi_u32 s23, s20, 24
	s_mul_i32 s24, s20, 24
	s_add_i32 s22, s23, s22
	v_mov_b32_e32 v1, s22
	s_waitcnt vmcnt(0)
	v_add_co_u32_e32 v15, vcc, s24, v11
	v_addc_co_u32_e32 v16, vcc, v12, v1, vcc
	s_and_saveexec_b64 s[22:23], s[0:1]
	s_cbranch_execz .LBB0_1118
; %bb.1117:                             ;   in Loop: Header=BB0_879 Depth=1
	v_mov_b32_e32 v3, s18
	v_mov_b32_e32 v4, s19
	global_store_dwordx4 v[15:16], v[3:6], off offset:8
.LBB0_1118:                             ;   in Loop: Header=BB0_879 Depth=1
	s_or_b64 exec, exec, s[22:23]
	s_lshl_b64 s[18:19], s[20:21], 12
	v_mov_b32_e32 v1, s19
	v_add_co_u32_e32 v13, vcc, s18, v13
	v_addc_co_u32_e32 v14, vcc, v14, v1, vcc
	v_and_or_b32 v7, v7, s8, 32
	v_mov_b32_e32 v9, v2
	v_mov_b32_e32 v10, v2
	v_readfirstlane_b32 s18, v13
	v_readfirstlane_b32 s19, v14
	s_nop 4
	global_store_dwordx4 v32, v[7:10], s[18:19]
	s_nop 0
	v_mov_b32_e32 v10, s7
	v_mov_b32_e32 v9, s6
	;; [unrolled: 1-line block ×4, first 2 shown]
	global_store_dwordx4 v32, v[7:10], s[18:19] offset:16
	global_store_dwordx4 v32, v[7:10], s[18:19] offset:32
	global_store_dwordx4 v32, v[7:10], s[18:19] offset:48
	s_and_saveexec_b64 s[18:19], s[0:1]
	s_cbranch_execz .LBB0_1126
; %bb.1119:                             ;   in Loop: Header=BB0_879 Depth=1
	global_load_dwordx2 v[19:20], v2, s[2:3] offset:32 glc
	global_load_dwordx2 v[3:4], v2, s[2:3] offset:40
	v_mov_b32_e32 v17, s14
	v_mov_b32_e32 v18, s15
	s_waitcnt vmcnt(0)
	v_readfirstlane_b32 s20, v3
	v_readfirstlane_b32 s21, v4
	s_and_b64 s[20:21], s[20:21], s[14:15]
	s_mul_i32 s21, s21, 24
	s_mul_hi_u32 s22, s20, 24
	s_mul_i32 s20, s20, 24
	s_add_i32 s21, s22, s21
	v_mov_b32_e32 v1, s21
	v_add_co_u32_e32 v3, vcc, s20, v11
	v_addc_co_u32_e32 v4, vcc, v12, v1, vcc
	global_store_dwordx2 v[3:4], v[19:20], off
	s_waitcnt vmcnt(0)
	global_atomic_cmpswap_x2 v[9:10], v2, v[17:20], s[2:3] offset:32 glc
	s_waitcnt vmcnt(0)
	v_cmp_ne_u64_e32 vcc, v[9:10], v[19:20]
	s_and_saveexec_b64 s[20:21], vcc
	s_cbranch_execz .LBB0_1122
; %bb.1120:                             ;   in Loop: Header=BB0_879 Depth=1
	s_mov_b64 s[22:23], 0
.LBB0_1121:                             ;   Parent Loop BB0_879 Depth=1
                                        ; =>  This Inner Loop Header: Depth=2
	s_sleep 1
	global_store_dwordx2 v[3:4], v[9:10], off
	v_mov_b32_e32 v7, s14
	v_mov_b32_e32 v8, s15
	s_waitcnt vmcnt(0)
	global_atomic_cmpswap_x2 v[7:8], v2, v[7:10], s[2:3] offset:32 glc
	s_waitcnt vmcnt(0)
	v_cmp_eq_u64_e32 vcc, v[7:8], v[9:10]
	v_mov_b32_e32 v10, v8
	s_or_b64 s[22:23], vcc, s[22:23]
	v_mov_b32_e32 v9, v7
	s_andn2_b64 exec, exec, s[22:23]
	s_cbranch_execnz .LBB0_1121
.LBB0_1122:                             ;   in Loop: Header=BB0_879 Depth=1
	s_or_b64 exec, exec, s[20:21]
	global_load_dwordx2 v[3:4], v2, s[2:3] offset:16
	s_mov_b64 s[22:23], exec
	v_mbcnt_lo_u32_b32 v1, s22, 0
	v_mbcnt_hi_u32_b32 v1, s23, v1
	v_cmp_eq_u32_e32 vcc, 0, v1
	s_and_saveexec_b64 s[20:21], vcc
	s_cbranch_execz .LBB0_1124
; %bb.1123:                             ;   in Loop: Header=BB0_879 Depth=1
	s_bcnt1_i32_b64 s22, s[22:23]
	v_mov_b32_e32 v1, s22
	s_waitcnt vmcnt(0)
	global_atomic_add_x2 v[3:4], v[1:2], off offset:8
.LBB0_1124:                             ;   in Loop: Header=BB0_879 Depth=1
	s_or_b64 exec, exec, s[20:21]
	s_waitcnt vmcnt(0)
	global_load_dwordx2 v[7:8], v[3:4], off offset:16
	s_waitcnt vmcnt(0)
	v_cmp_eq_u64_e32 vcc, 0, v[7:8]
	s_cbranch_vccnz .LBB0_1126
; %bb.1125:                             ;   in Loop: Header=BB0_879 Depth=1
	global_load_dword v1, v[3:4], off offset:24
	s_waitcnt vmcnt(0)
	v_readfirstlane_b32 s20, v1
	s_and_b32 m0, s20, 0xffffff
	global_store_dwordx2 v[7:8], v[1:2], off
	s_sendmsg sendmsg(MSG_INTERRUPT)
.LBB0_1126:                             ;   in Loop: Header=BB0_879 Depth=1
	s_or_b64 exec, exec, s[18:19]
	v_add_co_u32_e32 v3, vcc, v13, v32
	v_addc_co_u32_e32 v4, vcc, 0, v14, vcc
	s_branch .LBB0_1130
.LBB0_1127:                             ;   in Loop: Header=BB0_1130 Depth=2
	s_or_b64 exec, exec, s[18:19]
	v_readfirstlane_b32 s18, v1
	s_cmp_eq_u32 s18, 0
	s_cbranch_scc1 .LBB0_1129
; %bb.1128:                             ;   in Loop: Header=BB0_1130 Depth=2
	s_sleep 1
	s_cbranch_execnz .LBB0_1130
	s_branch .LBB0_1132
.LBB0_1129:                             ;   in Loop: Header=BB0_879 Depth=1
	s_branch .LBB0_1132
.LBB0_1130:                             ;   Parent Loop BB0_879 Depth=1
                                        ; =>  This Inner Loop Header: Depth=2
	v_mov_b32_e32 v1, 1
	s_and_saveexec_b64 s[18:19], s[0:1]
	s_cbranch_execz .LBB0_1127
; %bb.1131:                             ;   in Loop: Header=BB0_1130 Depth=2
	global_load_dword v1, v[15:16], off offset:20 glc
	s_waitcnt vmcnt(0)
	buffer_wbinvl1_vol
	v_and_b32_e32 v1, 1, v1
	s_branch .LBB0_1127
.LBB0_1132:                             ;   in Loop: Header=BB0_879 Depth=1
	global_load_dwordx2 v[9:10], v[3:4], off
	s_and_saveexec_b64 s[18:19], s[0:1]
	s_cbranch_execz .LBB0_1136
; %bb.1133:                             ;   in Loop: Header=BB0_879 Depth=1
	global_load_dwordx2 v[3:4], v2, s[2:3] offset:40
	global_load_dwordx2 v[15:16], v2, s[2:3] offset:24 glc
	global_load_dwordx2 v[7:8], v2, s[2:3]
	s_waitcnt vmcnt(2)
	v_readfirstlane_b32 s20, v3
	v_readfirstlane_b32 s21, v4
	s_add_u32 s22, s20, 1
	s_addc_u32 s23, s21, 0
	s_add_u32 s0, s22, s14
	s_addc_u32 s1, s23, s15
	s_cmp_eq_u64 s[0:1], 0
	s_cselect_b32 s1, s23, s1
	s_cselect_b32 s0, s22, s0
	s_and_b64 s[14:15], s[0:1], s[20:21]
	s_mul_i32 s15, s15, 24
	s_mul_hi_u32 s20, s14, 24
	s_mul_i32 s14, s14, 24
	s_add_i32 s15, s20, s15
	v_mov_b32_e32 v1, s15
	s_waitcnt vmcnt(0)
	v_add_co_u32_e32 v3, vcc, s14, v7
	v_addc_co_u32_e32 v4, vcc, v8, v1, vcc
	v_mov_b32_e32 v13, s0
	global_store_dwordx2 v[3:4], v[15:16], off
	v_mov_b32_e32 v14, s1
	s_waitcnt vmcnt(0)
	global_atomic_cmpswap_x2 v[13:14], v2, v[13:16], s[2:3] offset:24 glc
	s_waitcnt vmcnt(0)
	v_cmp_ne_u64_e32 vcc, v[13:14], v[15:16]
	s_and_b64 exec, exec, vcc
	s_cbranch_execz .LBB0_1136
; %bb.1134:                             ;   in Loop: Header=BB0_879 Depth=1
	s_mov_b64 s[14:15], 0
.LBB0_1135:                             ;   Parent Loop BB0_879 Depth=1
                                        ; =>  This Inner Loop Header: Depth=2
	s_sleep 1
	global_store_dwordx2 v[3:4], v[13:14], off
	v_mov_b32_e32 v11, s0
	v_mov_b32_e32 v12, s1
	s_waitcnt vmcnt(0)
	global_atomic_cmpswap_x2 v[7:8], v2, v[11:14], s[2:3] offset:24 glc
	s_waitcnt vmcnt(0)
	v_cmp_eq_u64_e32 vcc, v[7:8], v[13:14]
	v_mov_b32_e32 v14, v8
	s_or_b64 s[14:15], vcc, s[14:15]
	v_mov_b32_e32 v13, v7
	s_andn2_b64 exec, exec, s[14:15]
	s_cbranch_execnz .LBB0_1135
.LBB0_1136:                             ;   in Loop: Header=BB0_879 Depth=1
	s_or_b64 exec, exec, s[18:19]
.LBB0_1137:                             ;   in Loop: Header=BB0_879 Depth=1
	v_readfirstlane_b32 s0, v31
	v_mov_b32_e32 v3, 0
	v_mov_b32_e32 v4, 0
	v_cmp_eq_u32_e64 s[0:1], s0, v31
	s_and_saveexec_b64 s[14:15], s[0:1]
	s_cbranch_execz .LBB0_1143
; %bb.1138:                             ;   in Loop: Header=BB0_879 Depth=1
	global_load_dwordx2 v[13:14], v2, s[2:3] offset:24 glc
	s_waitcnt vmcnt(0)
	buffer_wbinvl1_vol
	global_load_dwordx2 v[3:4], v2, s[2:3] offset:40
	global_load_dwordx2 v[7:8], v2, s[2:3]
	s_waitcnt vmcnt(1)
	v_and_b32_e32 v1, v3, v13
	v_and_b32_e32 v3, v4, v14
	v_mul_lo_u32 v3, v3, 24
	v_mul_hi_u32 v4, v1, 24
	v_mul_lo_u32 v1, v1, 24
	v_add_u32_e32 v4, v4, v3
	s_waitcnt vmcnt(0)
	v_add_co_u32_e32 v3, vcc, v7, v1
	v_addc_co_u32_e32 v4, vcc, v8, v4, vcc
	global_load_dwordx2 v[11:12], v[3:4], off glc
	s_waitcnt vmcnt(0)
	global_atomic_cmpswap_x2 v[3:4], v2, v[11:14], s[2:3] offset:24 glc
	s_waitcnt vmcnt(0)
	buffer_wbinvl1_vol
	v_cmp_ne_u64_e32 vcc, v[3:4], v[13:14]
	s_and_saveexec_b64 s[18:19], vcc
	s_cbranch_execz .LBB0_1142
; %bb.1139:                             ;   in Loop: Header=BB0_879 Depth=1
	s_mov_b64 s[20:21], 0
.LBB0_1140:                             ;   Parent Loop BB0_879 Depth=1
                                        ; =>  This Inner Loop Header: Depth=2
	s_sleep 1
	global_load_dwordx2 v[7:8], v2, s[2:3] offset:40
	global_load_dwordx2 v[11:12], v2, s[2:3]
	v_mov_b32_e32 v14, v4
	v_mov_b32_e32 v13, v3
	s_waitcnt vmcnt(1)
	v_and_b32_e32 v1, v7, v13
	s_waitcnt vmcnt(0)
	v_mad_u64_u32 v[3:4], s[22:23], v1, 24, v[11:12]
	v_and_b32_e32 v7, v8, v14
	v_mov_b32_e32 v1, v4
	v_mad_u64_u32 v[7:8], s[22:23], v7, 24, v[1:2]
	v_mov_b32_e32 v4, v7
	global_load_dwordx2 v[11:12], v[3:4], off glc
	s_waitcnt vmcnt(0)
	global_atomic_cmpswap_x2 v[3:4], v2, v[11:14], s[2:3] offset:24 glc
	s_waitcnt vmcnt(0)
	buffer_wbinvl1_vol
	v_cmp_eq_u64_e32 vcc, v[3:4], v[13:14]
	s_or_b64 s[20:21], vcc, s[20:21]
	s_andn2_b64 exec, exec, s[20:21]
	s_cbranch_execnz .LBB0_1140
; %bb.1141:                             ;   in Loop: Header=BB0_879 Depth=1
	s_or_b64 exec, exec, s[20:21]
.LBB0_1142:                             ;   in Loop: Header=BB0_879 Depth=1
	s_or_b64 exec, exec, s[18:19]
.LBB0_1143:                             ;   in Loop: Header=BB0_879 Depth=1
	s_or_b64 exec, exec, s[14:15]
	global_load_dwordx2 v[7:8], v2, s[2:3] offset:40
	global_load_dwordx4 v[13:16], v2, s[2:3]
	v_readfirstlane_b32 s15, v4
	v_readfirstlane_b32 s14, v3
	s_mov_b64 s[18:19], exec
	s_waitcnt vmcnt(1)
	v_readfirstlane_b32 s20, v7
	v_readfirstlane_b32 s21, v8
	s_and_b64 s[20:21], s[20:21], s[14:15]
	s_mul_i32 s22, s21, 24
	s_mul_hi_u32 s23, s20, 24
	s_mul_i32 s24, s20, 24
	s_add_i32 s22, s23, s22
	v_mov_b32_e32 v1, s22
	s_waitcnt vmcnt(0)
	v_add_co_u32_e32 v17, vcc, s24, v13
	v_addc_co_u32_e32 v18, vcc, v14, v1, vcc
	s_and_saveexec_b64 s[22:23], s[0:1]
	s_cbranch_execz .LBB0_1145
; %bb.1144:                             ;   in Loop: Header=BB0_879 Depth=1
	v_mov_b32_e32 v3, s18
	v_mov_b32_e32 v4, s19
	global_store_dwordx4 v[17:18], v[3:6], off offset:8
.LBB0_1145:                             ;   in Loop: Header=BB0_879 Depth=1
	s_or_b64 exec, exec, s[22:23]
	s_lshl_b64 s[18:19], s[20:21], 12
	v_mov_b32_e32 v1, s19
	v_add_co_u32_e32 v3, vcc, s18, v15
	v_addc_co_u32_e32 v1, vcc, v16, v1, vcc
	s_ashr_i32 s18, s31, 1
	v_and_or_b32 v9, v9, s30, 34
	v_mov_b32_e32 v11, s18
	v_mov_b32_e32 v12, v2
	v_readfirstlane_b32 s18, v3
	v_readfirstlane_b32 s19, v1
	s_nop 4
	global_store_dwordx4 v32, v[9:12], s[18:19]
	s_nop 0
	v_mov_b32_e32 v10, s7
	v_mov_b32_e32 v9, s6
	;; [unrolled: 1-line block ×4, first 2 shown]
	global_store_dwordx4 v32, v[7:10], s[18:19] offset:16
	global_store_dwordx4 v32, v[7:10], s[18:19] offset:32
	;; [unrolled: 1-line block ×3, first 2 shown]
	s_and_saveexec_b64 s[18:19], s[0:1]
	s_cbranch_execz .LBB0_1153
; %bb.1146:                             ;   in Loop: Header=BB0_879 Depth=1
	global_load_dwordx2 v[11:12], v2, s[2:3] offset:32 glc
	global_load_dwordx2 v[3:4], v2, s[2:3] offset:40
	v_mov_b32_e32 v9, s14
	v_mov_b32_e32 v10, s15
	s_waitcnt vmcnt(0)
	v_readfirstlane_b32 s20, v3
	v_readfirstlane_b32 s21, v4
	s_and_b64 s[20:21], s[20:21], s[14:15]
	s_mul_i32 s21, s21, 24
	s_mul_hi_u32 s22, s20, 24
	s_mul_i32 s20, s20, 24
	s_add_i32 s21, s22, s21
	v_mov_b32_e32 v1, s21
	v_add_co_u32_e32 v3, vcc, s20, v13
	v_addc_co_u32_e32 v4, vcc, v14, v1, vcc
	global_store_dwordx2 v[3:4], v[11:12], off
	s_waitcnt vmcnt(0)
	global_atomic_cmpswap_x2 v[9:10], v2, v[9:12], s[2:3] offset:32 glc
	s_waitcnt vmcnt(0)
	v_cmp_ne_u64_e32 vcc, v[9:10], v[11:12]
	s_and_saveexec_b64 s[20:21], vcc
	s_cbranch_execz .LBB0_1149
; %bb.1147:                             ;   in Loop: Header=BB0_879 Depth=1
	s_mov_b64 s[22:23], 0
.LBB0_1148:                             ;   Parent Loop BB0_879 Depth=1
                                        ; =>  This Inner Loop Header: Depth=2
	s_sleep 1
	global_store_dwordx2 v[3:4], v[9:10], off
	v_mov_b32_e32 v7, s14
	v_mov_b32_e32 v8, s15
	s_waitcnt vmcnt(0)
	global_atomic_cmpswap_x2 v[7:8], v2, v[7:10], s[2:3] offset:32 glc
	s_waitcnt vmcnt(0)
	v_cmp_eq_u64_e32 vcc, v[7:8], v[9:10]
	v_mov_b32_e32 v10, v8
	s_or_b64 s[22:23], vcc, s[22:23]
	v_mov_b32_e32 v9, v7
	s_andn2_b64 exec, exec, s[22:23]
	s_cbranch_execnz .LBB0_1148
.LBB0_1149:                             ;   in Loop: Header=BB0_879 Depth=1
	s_or_b64 exec, exec, s[20:21]
	global_load_dwordx2 v[3:4], v2, s[2:3] offset:16
	s_mov_b64 s[22:23], exec
	v_mbcnt_lo_u32_b32 v1, s22, 0
	v_mbcnt_hi_u32_b32 v1, s23, v1
	v_cmp_eq_u32_e32 vcc, 0, v1
	s_and_saveexec_b64 s[20:21], vcc
	s_cbranch_execz .LBB0_1151
; %bb.1150:                             ;   in Loop: Header=BB0_879 Depth=1
	s_bcnt1_i32_b64 s22, s[22:23]
	v_mov_b32_e32 v1, s22
	s_waitcnt vmcnt(0)
	global_atomic_add_x2 v[3:4], v[1:2], off offset:8
.LBB0_1151:                             ;   in Loop: Header=BB0_879 Depth=1
	s_or_b64 exec, exec, s[20:21]
	s_waitcnt vmcnt(0)
	global_load_dwordx2 v[7:8], v[3:4], off offset:16
	s_waitcnt vmcnt(0)
	v_cmp_eq_u64_e32 vcc, 0, v[7:8]
	s_cbranch_vccnz .LBB0_1153
; %bb.1152:                             ;   in Loop: Header=BB0_879 Depth=1
	global_load_dword v1, v[3:4], off offset:24
	s_waitcnt vmcnt(0)
	v_readfirstlane_b32 s20, v1
	s_and_b32 m0, s20, 0xffffff
	global_store_dwordx2 v[7:8], v[1:2], off
	s_sendmsg sendmsg(MSG_INTERRUPT)
.LBB0_1153:                             ;   in Loop: Header=BB0_879 Depth=1
	s_or_b64 exec, exec, s[18:19]
	s_branch .LBB0_1157
.LBB0_1154:                             ;   in Loop: Header=BB0_1157 Depth=2
	s_or_b64 exec, exec, s[18:19]
	v_readfirstlane_b32 s18, v1
	s_cmp_eq_u32 s18, 0
	s_cbranch_scc1 .LBB0_1156
; %bb.1155:                             ;   in Loop: Header=BB0_1157 Depth=2
	s_sleep 1
	s_cbranch_execnz .LBB0_1157
	s_branch .LBB0_1159
.LBB0_1156:                             ;   in Loop: Header=BB0_879 Depth=1
	s_branch .LBB0_1159
.LBB0_1157:                             ;   Parent Loop BB0_879 Depth=1
                                        ; =>  This Inner Loop Header: Depth=2
	v_mov_b32_e32 v1, 1
	s_and_saveexec_b64 s[18:19], s[0:1]
	s_cbranch_execz .LBB0_1154
; %bb.1158:                             ;   in Loop: Header=BB0_1157 Depth=2
	global_load_dword v1, v[17:18], off offset:20 glc
	s_waitcnt vmcnt(0)
	buffer_wbinvl1_vol
	v_and_b32_e32 v1, 1, v1
	s_branch .LBB0_1154
.LBB0_1159:                             ;   in Loop: Header=BB0_879 Depth=1
	s_and_saveexec_b64 s[18:19], s[0:1]
	s_cbranch_execz .LBB0_878
; %bb.1160:                             ;   in Loop: Header=BB0_879 Depth=1
	global_load_dwordx2 v[3:4], v2, s[2:3] offset:40
	global_load_dwordx2 v[11:12], v2, s[2:3] offset:24 glc
	global_load_dwordx2 v[7:8], v2, s[2:3]
	s_waitcnt vmcnt(2)
	v_readfirstlane_b32 s20, v3
	v_readfirstlane_b32 s21, v4
	s_add_u32 s22, s20, 1
	s_addc_u32 s23, s21, 0
	s_add_u32 s0, s22, s14
	s_addc_u32 s1, s23, s15
	s_cmp_eq_u64 s[0:1], 0
	s_cselect_b32 s1, s23, s1
	s_cselect_b32 s0, s22, s0
	s_and_b64 s[14:15], s[0:1], s[20:21]
	s_mul_i32 s15, s15, 24
	s_mul_hi_u32 s20, s14, 24
	s_mul_i32 s14, s14, 24
	s_add_i32 s15, s20, s15
	v_mov_b32_e32 v1, s15
	s_waitcnt vmcnt(0)
	v_add_co_u32_e32 v3, vcc, s14, v7
	v_addc_co_u32_e32 v4, vcc, v8, v1, vcc
	v_mov_b32_e32 v9, s0
	global_store_dwordx2 v[3:4], v[11:12], off
	v_mov_b32_e32 v10, s1
	s_waitcnt vmcnt(0)
	global_atomic_cmpswap_x2 v[9:10], v2, v[9:12], s[2:3] offset:24 glc
	s_waitcnt vmcnt(0)
	v_cmp_ne_u64_e32 vcc, v[9:10], v[11:12]
	s_and_b64 exec, exec, vcc
	s_cbranch_execz .LBB0_878
; %bb.1161:                             ;   in Loop: Header=BB0_879 Depth=1
	s_mov_b64 s[14:15], 0
.LBB0_1162:                             ;   Parent Loop BB0_879 Depth=1
                                        ; =>  This Inner Loop Header: Depth=2
	s_sleep 1
	global_store_dwordx2 v[3:4], v[9:10], off
	v_mov_b32_e32 v7, s0
	v_mov_b32_e32 v8, s1
	s_waitcnt vmcnt(0)
	global_atomic_cmpswap_x2 v[7:8], v2, v[7:10], s[2:3] offset:24 glc
	s_waitcnt vmcnt(0)
	v_cmp_eq_u64_e32 vcc, v[7:8], v[9:10]
	v_mov_b32_e32 v10, v8
	s_or_b64 s[14:15], vcc, s[14:15]
	v_mov_b32_e32 v9, v7
	s_andn2_b64 exec, exec, s[14:15]
	s_cbranch_execnz .LBB0_1162
	s_branch .LBB0_878
.LBB0_1163:
	s_endpgm
	.section	.rodata,"a",@progbits
	.p2align	6, 0x0
	.amdhsa_kernel _Z9printAIGAPKiS0_S0_iii
		.amdhsa_group_segment_fixed_size 0
		.amdhsa_private_segment_fixed_size 0
		.amdhsa_kernarg_size 296
		.amdhsa_user_sgpr_count 6
		.amdhsa_user_sgpr_private_segment_buffer 1
		.amdhsa_user_sgpr_dispatch_ptr 0
		.amdhsa_user_sgpr_queue_ptr 0
		.amdhsa_user_sgpr_kernarg_segment_ptr 1
		.amdhsa_user_sgpr_dispatch_id 0
		.amdhsa_user_sgpr_flat_scratch_init 0
		.amdhsa_user_sgpr_private_segment_size 0
		.amdhsa_uses_dynamic_stack 0
		.amdhsa_system_sgpr_private_segment_wavefront_offset 0
		.amdhsa_system_sgpr_workgroup_id_x 1
		.amdhsa_system_sgpr_workgroup_id_y 0
		.amdhsa_system_sgpr_workgroup_id_z 0
		.amdhsa_system_sgpr_workgroup_info 0
		.amdhsa_system_vgpr_workitem_id 0
		.amdhsa_next_free_vgpr 33
		.amdhsa_next_free_sgpr 43
		.amdhsa_reserve_vcc 1
		.amdhsa_reserve_flat_scratch 0
		.amdhsa_float_round_mode_32 0
		.amdhsa_float_round_mode_16_64 0
		.amdhsa_float_denorm_mode_32 3
		.amdhsa_float_denorm_mode_16_64 3
		.amdhsa_dx10_clamp 1
		.amdhsa_ieee_mode 1
		.amdhsa_fp16_overflow 0
		.amdhsa_exception_fp_ieee_invalid_op 0
		.amdhsa_exception_fp_denorm_src 0
		.amdhsa_exception_fp_ieee_div_zero 0
		.amdhsa_exception_fp_ieee_overflow 0
		.amdhsa_exception_fp_ieee_underflow 0
		.amdhsa_exception_fp_ieee_inexact 0
		.amdhsa_exception_int_div_zero 0
	.end_amdhsa_kernel
	.text
.Lfunc_end0:
	.size	_Z9printAIGAPKiS0_S0_iii, .Lfunc_end0-_Z9printAIGAPKiS0_S0_iii
                                        ; -- End function
	.set _Z9printAIGAPKiS0_S0_iii.num_vgpr, 33
	.set _Z9printAIGAPKiS0_S0_iii.num_agpr, 0
	.set _Z9printAIGAPKiS0_S0_iii.numbered_sgpr, 43
	.set _Z9printAIGAPKiS0_S0_iii.num_named_barrier, 0
	.set _Z9printAIGAPKiS0_S0_iii.private_seg_size, 0
	.set _Z9printAIGAPKiS0_S0_iii.uses_vcc, 1
	.set _Z9printAIGAPKiS0_S0_iii.uses_flat_scratch, 0
	.set _Z9printAIGAPKiS0_S0_iii.has_dyn_sized_stack, 0
	.set _Z9printAIGAPKiS0_S0_iii.has_recursion, 0
	.set _Z9printAIGAPKiS0_S0_iii.has_indirect_call, 0
	.section	.AMDGPU.csdata,"",@progbits
; Kernel info:
; codeLenInByte = 37836
; TotalNumSgprs: 47
; NumVgprs: 33
; ScratchSize: 0
; MemoryBound: 0
; FloatMode: 240
; IeeeMode: 1
; LDSByteSize: 0 bytes/workgroup (compile time only)
; SGPRBlocks: 5
; VGPRBlocks: 8
; NumSGPRsForWavesPerEU: 47
; NumVGPRsForWavesPerEU: 33
; Occupancy: 7
; WaveLimiterHint : 1
; COMPUTE_PGM_RSRC2:SCRATCH_EN: 0
; COMPUTE_PGM_RSRC2:USER_SGPR: 6
; COMPUTE_PGM_RSRC2:TRAP_HANDLER: 0
; COMPUTE_PGM_RSRC2:TGID_X_EN: 1
; COMPUTE_PGM_RSRC2:TGID_Y_EN: 0
; COMPUTE_PGM_RSRC2:TGID_Z_EN: 0
; COMPUTE_PGM_RSRC2:TIDIG_COMP_CNT: 0
	.text
	.p2align	2                               ; -- Begin function __ockl_printf_append_string_n
	.type	__ockl_printf_append_string_n,@function
__ockl_printf_append_string_n:          ; @__ockl_printf_append_string_n
; %bb.0:
	s_waitcnt vmcnt(0) expcnt(0) lgkmcnt(0)
	v_mov_b32_e32 v8, v3
	v_mov_b32_e32 v7, v2
                                        ; kill: def $vgpr1 killed $vgpr1 def $vgpr0
	v_or_b32_e32 v2, 2, v0
	v_cmp_eq_u32_e32 vcc, 0, v6
	v_cndmask_b32_e32 v3, v2, v0, vcc
	v_cmp_ne_u64_e32 vcc, 0, v[7:8]
	s_mov_b32 s22, 0
	s_mov_b64 s[6:7], 0
	v_mbcnt_lo_u32_b32 v2, -1, 0
	s_and_saveexec_b64 s[4:5], vcc
	s_xor_b64 s[10:11], exec, s[4:5]
	s_cbranch_execz .LBB1_86
; %bb.1:
	s_load_dwordx2 s[12:13], s[8:9], 0x50
	v_and_b32_e32 v6, 2, v3
	v_mov_b32_e32 v29, 0
	v_and_b32_e32 v0, -3, v3
	v_mbcnt_hi_u32_b32 v34, -1, v2
	s_movk_i32 s23, 0x1e0
	v_mov_b32_e32 v11, 2
	v_mov_b32_e32 v12, 1
	s_branch .LBB1_3
.LBB1_2:                                ;   in Loop: Header=BB1_3 Depth=1
	s_or_b64 exec, exec, s[16:17]
	v_sub_co_u32_e32 v4, vcc, v4, v30
	v_subb_co_u32_e32 v5, vcc, v5, v31, vcc
	v_cmp_eq_u64_e32 vcc, 0, v[4:5]
	s_or_b64 s[6:7], vcc, s[6:7]
	v_add_co_u32_e32 v7, vcc, v7, v30
	v_addc_co_u32_e32 v8, vcc, v8, v31, vcc
	s_andn2_b64 exec, exec, s[6:7]
	s_cbranch_execz .LBB1_85
.LBB1_3:                                ; =>This Loop Header: Depth=1
                                        ;     Child Loop BB1_6 Depth 2
                                        ;     Child Loop BB1_14 Depth 2
	;; [unrolled: 1-line block ×11, first 2 shown]
	v_cmp_gt_u64_e32 vcc, 56, v[4:5]
	v_add_co_u32_e64 v15, s[4:5], 8, v7
	v_cndmask_b32_e32 v31, 0, v5, vcc
	v_cndmask_b32_e32 v30, 56, v4, vcc
	v_cmp_gt_u64_e32 vcc, 8, v[4:5]
	v_addc_co_u32_e64 v16, s[4:5], 0, v8, s[4:5]
	s_and_saveexec_b64 s[4:5], vcc
	s_xor_b64 s[4:5], exec, s[4:5]
	s_cbranch_execz .LBB1_9
; %bb.4:                                ;   in Loop: Header=BB1_3 Depth=1
	v_mov_b32_e32 v2, 0
	v_cmp_ne_u64_e32 vcc, 0, v[4:5]
	v_mov_b32_e32 v3, 0
	s_and_saveexec_b64 s[14:15], vcc
	s_cbranch_execz .LBB1_8
; %bb.5:                                ;   in Loop: Header=BB1_3 Depth=1
	v_lshlrev_b64 v[9:10], 3, v[30:31]
	v_mov_b32_e32 v2, 0
	v_mov_b32_e32 v14, v8
	s_mov_b64 s[16:17], 0
	v_mov_b32_e32 v3, 0
	v_mov_b32_e32 v13, v7
	s_mov_b64 s[18:19], 0
.LBB1_6:                                ;   Parent Loop BB1_3 Depth=1
                                        ; =>  This Inner Loop Header: Depth=2
	global_load_ubyte v10, v[13:14], off
	v_mov_b32_e32 v16, s22
	v_add_co_u32_e32 v13, vcc, 1, v13
	v_addc_co_u32_e32 v14, vcc, 0, v14, vcc
	s_waitcnt vmcnt(0)
	v_and_b32_e32 v15, 0xffff, v10
	v_lshlrev_b64 v[15:16], s18, v[15:16]
	s_add_u32 s18, s18, 8
	s_addc_u32 s19, s19, 0
	v_cmp_eq_u32_e32 vcc, s18, v9
	v_or_b32_e32 v3, v16, v3
	s_or_b64 s[16:17], vcc, s[16:17]
	v_or_b32_e32 v2, v15, v2
	s_andn2_b64 exec, exec, s[16:17]
	s_cbranch_execnz .LBB1_6
; %bb.7:                                ;   in Loop: Header=BB1_3 Depth=1
	s_or_b64 exec, exec, s[16:17]
.LBB1_8:                                ;   in Loop: Header=BB1_3 Depth=1
	s_or_b64 exec, exec, s[14:15]
	v_mov_b32_e32 v16, v8
	v_mov_b32_e32 v15, v7
.LBB1_9:                                ;   in Loop: Header=BB1_3 Depth=1
	s_or_saveexec_b64 s[4:5], s[4:5]
	v_mov_b32_e32 v17, 0
	s_xor_b64 exec, exec, s[4:5]
	s_cbranch_execz .LBB1_11
; %bb.10:                               ;   in Loop: Header=BB1_3 Depth=1
	global_load_dwordx2 v[2:3], v[7:8], off
	v_add_u32_e32 v17, -8, v30
.LBB1_11:                               ;   in Loop: Header=BB1_3 Depth=1
	s_or_b64 exec, exec, s[4:5]
	v_add_co_u32_e64 v9, s[4:5], 8, v15
	v_cmp_gt_u32_e32 vcc, 8, v17
	v_addc_co_u32_e64 v10, s[4:5], 0, v16, s[4:5]
                                        ; implicit-def: $vgpr13_vgpr14
	s_and_saveexec_b64 s[4:5], vcc
	s_xor_b64 s[4:5], exec, s[4:5]
	s_cbranch_execz .LBB1_17
; %bb.12:                               ;   in Loop: Header=BB1_3 Depth=1
	v_mov_b32_e32 v13, 0
	v_mov_b32_e32 v14, 0
	v_cmp_ne_u32_e32 vcc, 0, v17
	s_and_saveexec_b64 s[14:15], vcc
	s_cbranch_execz .LBB1_16
; %bb.13:                               ;   in Loop: Header=BB1_3 Depth=1
	v_mov_b32_e32 v13, 0
	s_mov_b64 s[16:17], 0
	v_mov_b32_e32 v14, 0
	s_mov_b64 s[18:19], 0
	s_mov_b64 s[20:21], 0
.LBB1_14:                               ;   Parent Loop BB1_3 Depth=1
                                        ; =>  This Inner Loop Header: Depth=2
	v_mov_b32_e32 v10, s21
	v_add_co_u32_e32 v9, vcc, s20, v15
	v_addc_co_u32_e32 v10, vcc, v16, v10, vcc
	global_load_ubyte v9, v[9:10], off
	s_add_u32 s20, s20, 1
	v_mov_b32_e32 v10, s22
	s_addc_u32 s21, s21, 0
	v_cmp_eq_u32_e32 vcc, s20, v17
	s_waitcnt vmcnt(0)
	v_and_b32_e32 v9, 0xffff, v9
	v_lshlrev_b64 v[9:10], s18, v[9:10]
	s_add_u32 s18, s18, 8
	s_addc_u32 s19, s19, 0
	v_or_b32_e32 v14, v10, v14
	s_or_b64 s[16:17], vcc, s[16:17]
	v_or_b32_e32 v13, v9, v13
	s_andn2_b64 exec, exec, s[16:17]
	s_cbranch_execnz .LBB1_14
; %bb.15:                               ;   in Loop: Header=BB1_3 Depth=1
	s_or_b64 exec, exec, s[16:17]
.LBB1_16:                               ;   in Loop: Header=BB1_3 Depth=1
	s_or_b64 exec, exec, s[14:15]
	v_mov_b32_e32 v9, v15
	v_mov_b32_e32 v10, v16
                                        ; implicit-def: $vgpr17
.LBB1_17:                               ;   in Loop: Header=BB1_3 Depth=1
	s_or_saveexec_b64 s[4:5], s[4:5]
	v_mov_b32_e32 v18, 0
	s_xor_b64 exec, exec, s[4:5]
	s_cbranch_execz .LBB1_19
; %bb.18:                               ;   in Loop: Header=BB1_3 Depth=1
	global_load_dwordx2 v[13:14], v[15:16], off
	v_add_u32_e32 v18, -8, v17
.LBB1_19:                               ;   in Loop: Header=BB1_3 Depth=1
	s_or_b64 exec, exec, s[4:5]
	v_add_co_u32_e64 v19, s[4:5], 8, v9
	v_cmp_gt_u32_e32 vcc, 8, v18
	v_addc_co_u32_e64 v20, s[4:5], 0, v10, s[4:5]
	s_and_saveexec_b64 s[4:5], vcc
	s_xor_b64 s[4:5], exec, s[4:5]
	s_cbranch_execz .LBB1_25
; %bb.20:                               ;   in Loop: Header=BB1_3 Depth=1
	v_mov_b32_e32 v15, 0
	v_mov_b32_e32 v16, 0
	v_cmp_ne_u32_e32 vcc, 0, v18
	s_and_saveexec_b64 s[14:15], vcc
	s_cbranch_execz .LBB1_24
; %bb.21:                               ;   in Loop: Header=BB1_3 Depth=1
	v_mov_b32_e32 v15, 0
	s_mov_b64 s[16:17], 0
	v_mov_b32_e32 v16, 0
	s_mov_b64 s[18:19], 0
	s_mov_b64 s[20:21], 0
.LBB1_22:                               ;   Parent Loop BB1_3 Depth=1
                                        ; =>  This Inner Loop Header: Depth=2
	v_mov_b32_e32 v17, s21
	v_add_co_u32_e32 v19, vcc, s20, v9
	v_addc_co_u32_e32 v20, vcc, v10, v17, vcc
	global_load_ubyte v17, v[19:20], off
	s_add_u32 s20, s20, 1
	v_mov_b32_e32 v20, s22
	s_addc_u32 s21, s21, 0
	v_cmp_eq_u32_e32 vcc, s20, v18
	s_waitcnt vmcnt(0)
	v_and_b32_e32 v19, 0xffff, v17
	v_lshlrev_b64 v[19:20], s18, v[19:20]
	s_add_u32 s18, s18, 8
	s_addc_u32 s19, s19, 0
	v_or_b32_e32 v16, v20, v16
	s_or_b64 s[16:17], vcc, s[16:17]
	v_or_b32_e32 v15, v19, v15
	s_andn2_b64 exec, exec, s[16:17]
	s_cbranch_execnz .LBB1_22
; %bb.23:                               ;   in Loop: Header=BB1_3 Depth=1
	s_or_b64 exec, exec, s[16:17]
.LBB1_24:                               ;   in Loop: Header=BB1_3 Depth=1
	s_or_b64 exec, exec, s[14:15]
	v_mov_b32_e32 v20, v10
	v_mov_b32_e32 v19, v9
                                        ; implicit-def: $vgpr18
.LBB1_25:                               ;   in Loop: Header=BB1_3 Depth=1
	s_or_saveexec_b64 s[4:5], s[4:5]
	v_mov_b32_e32 v21, 0
	s_xor_b64 exec, exec, s[4:5]
	s_cbranch_execz .LBB1_27
; %bb.26:                               ;   in Loop: Header=BB1_3 Depth=1
	global_load_dwordx2 v[15:16], v[9:10], off
	v_add_u32_e32 v21, -8, v18
.LBB1_27:                               ;   in Loop: Header=BB1_3 Depth=1
	s_or_b64 exec, exec, s[4:5]
	v_add_co_u32_e64 v9, s[4:5], 8, v19
	v_cmp_gt_u32_e32 vcc, 8, v21
	v_addc_co_u32_e64 v10, s[4:5], 0, v20, s[4:5]
                                        ; implicit-def: $vgpr17_vgpr18
	s_and_saveexec_b64 s[4:5], vcc
	s_xor_b64 s[4:5], exec, s[4:5]
	s_cbranch_execz .LBB1_33
; %bb.28:                               ;   in Loop: Header=BB1_3 Depth=1
	v_mov_b32_e32 v17, 0
	v_mov_b32_e32 v18, 0
	v_cmp_ne_u32_e32 vcc, 0, v21
	s_and_saveexec_b64 s[14:15], vcc
	s_cbranch_execz .LBB1_32
; %bb.29:                               ;   in Loop: Header=BB1_3 Depth=1
	v_mov_b32_e32 v17, 0
	s_mov_b64 s[16:17], 0
	v_mov_b32_e32 v18, 0
	s_mov_b64 s[18:19], 0
	s_mov_b64 s[20:21], 0
.LBB1_30:                               ;   Parent Loop BB1_3 Depth=1
                                        ; =>  This Inner Loop Header: Depth=2
	v_mov_b32_e32 v10, s21
	v_add_co_u32_e32 v9, vcc, s20, v19
	v_addc_co_u32_e32 v10, vcc, v20, v10, vcc
	global_load_ubyte v9, v[9:10], off
	s_add_u32 s20, s20, 1
	v_mov_b32_e32 v10, s22
	s_addc_u32 s21, s21, 0
	v_cmp_eq_u32_e32 vcc, s20, v21
	s_waitcnt vmcnt(0)
	v_and_b32_e32 v9, 0xffff, v9
	v_lshlrev_b64 v[9:10], s18, v[9:10]
	s_add_u32 s18, s18, 8
	s_addc_u32 s19, s19, 0
	v_or_b32_e32 v18, v10, v18
	s_or_b64 s[16:17], vcc, s[16:17]
	v_or_b32_e32 v17, v9, v17
	s_andn2_b64 exec, exec, s[16:17]
	s_cbranch_execnz .LBB1_30
; %bb.31:                               ;   in Loop: Header=BB1_3 Depth=1
	s_or_b64 exec, exec, s[16:17]
.LBB1_32:                               ;   in Loop: Header=BB1_3 Depth=1
	s_or_b64 exec, exec, s[14:15]
	v_mov_b32_e32 v9, v19
	v_mov_b32_e32 v10, v20
                                        ; implicit-def: $vgpr21
.LBB1_33:                               ;   in Loop: Header=BB1_3 Depth=1
	s_or_saveexec_b64 s[4:5], s[4:5]
	v_mov_b32_e32 v22, 0
	s_xor_b64 exec, exec, s[4:5]
	s_cbranch_execz .LBB1_35
; %bb.34:                               ;   in Loop: Header=BB1_3 Depth=1
	global_load_dwordx2 v[17:18], v[19:20], off
	v_add_u32_e32 v22, -8, v21
.LBB1_35:                               ;   in Loop: Header=BB1_3 Depth=1
	s_or_b64 exec, exec, s[4:5]
	v_add_co_u32_e64 v23, s[4:5], 8, v9
	v_cmp_gt_u32_e32 vcc, 8, v22
	v_addc_co_u32_e64 v24, s[4:5], 0, v10, s[4:5]
	s_and_saveexec_b64 s[4:5], vcc
	s_xor_b64 s[4:5], exec, s[4:5]
	s_cbranch_execz .LBB1_41
; %bb.36:                               ;   in Loop: Header=BB1_3 Depth=1
	v_mov_b32_e32 v19, 0
	v_mov_b32_e32 v20, 0
	v_cmp_ne_u32_e32 vcc, 0, v22
	s_and_saveexec_b64 s[14:15], vcc
	s_cbranch_execz .LBB1_40
; %bb.37:                               ;   in Loop: Header=BB1_3 Depth=1
	v_mov_b32_e32 v19, 0
	s_mov_b64 s[16:17], 0
	v_mov_b32_e32 v20, 0
	s_mov_b64 s[18:19], 0
	s_mov_b64 s[20:21], 0
.LBB1_38:                               ;   Parent Loop BB1_3 Depth=1
                                        ; =>  This Inner Loop Header: Depth=2
	v_mov_b32_e32 v21, s21
	v_add_co_u32_e32 v23, vcc, s20, v9
	v_addc_co_u32_e32 v24, vcc, v10, v21, vcc
	global_load_ubyte v21, v[23:24], off
	s_add_u32 s20, s20, 1
	v_mov_b32_e32 v24, s22
	s_addc_u32 s21, s21, 0
	v_cmp_eq_u32_e32 vcc, s20, v22
	s_waitcnt vmcnt(0)
	v_and_b32_e32 v23, 0xffff, v21
	v_lshlrev_b64 v[23:24], s18, v[23:24]
	s_add_u32 s18, s18, 8
	s_addc_u32 s19, s19, 0
	v_or_b32_e32 v20, v24, v20
	s_or_b64 s[16:17], vcc, s[16:17]
	v_or_b32_e32 v19, v23, v19
	s_andn2_b64 exec, exec, s[16:17]
	s_cbranch_execnz .LBB1_38
; %bb.39:                               ;   in Loop: Header=BB1_3 Depth=1
	s_or_b64 exec, exec, s[16:17]
.LBB1_40:                               ;   in Loop: Header=BB1_3 Depth=1
	s_or_b64 exec, exec, s[14:15]
	v_mov_b32_e32 v24, v10
	v_mov_b32_e32 v23, v9
                                        ; implicit-def: $vgpr22
.LBB1_41:                               ;   in Loop: Header=BB1_3 Depth=1
	s_or_saveexec_b64 s[4:5], s[4:5]
	v_mov_b32_e32 v25, 0
	s_xor_b64 exec, exec, s[4:5]
	s_cbranch_execz .LBB1_43
; %bb.42:                               ;   in Loop: Header=BB1_3 Depth=1
	global_load_dwordx2 v[19:20], v[9:10], off
	v_add_u32_e32 v25, -8, v22
.LBB1_43:                               ;   in Loop: Header=BB1_3 Depth=1
	s_or_b64 exec, exec, s[4:5]
	v_add_co_u32_e64 v9, s[4:5], 8, v23
	v_cmp_gt_u32_e32 vcc, 8, v25
	v_addc_co_u32_e64 v10, s[4:5], 0, v24, s[4:5]
                                        ; implicit-def: $vgpr21_vgpr22
	s_and_saveexec_b64 s[4:5], vcc
	s_xor_b64 s[4:5], exec, s[4:5]
	s_cbranch_execz .LBB1_49
; %bb.44:                               ;   in Loop: Header=BB1_3 Depth=1
	v_mov_b32_e32 v21, 0
	v_mov_b32_e32 v22, 0
	v_cmp_ne_u32_e32 vcc, 0, v25
	s_and_saveexec_b64 s[14:15], vcc
	s_cbranch_execz .LBB1_48
; %bb.45:                               ;   in Loop: Header=BB1_3 Depth=1
	v_mov_b32_e32 v21, 0
	s_mov_b64 s[16:17], 0
	v_mov_b32_e32 v22, 0
	s_mov_b64 s[18:19], 0
	s_mov_b64 s[20:21], 0
.LBB1_46:                               ;   Parent Loop BB1_3 Depth=1
                                        ; =>  This Inner Loop Header: Depth=2
	v_mov_b32_e32 v10, s21
	v_add_co_u32_e32 v9, vcc, s20, v23
	v_addc_co_u32_e32 v10, vcc, v24, v10, vcc
	global_load_ubyte v9, v[9:10], off
	s_add_u32 s20, s20, 1
	v_mov_b32_e32 v10, s22
	s_addc_u32 s21, s21, 0
	v_cmp_eq_u32_e32 vcc, s20, v25
	s_waitcnt vmcnt(0)
	v_and_b32_e32 v9, 0xffff, v9
	v_lshlrev_b64 v[9:10], s18, v[9:10]
	s_add_u32 s18, s18, 8
	s_addc_u32 s19, s19, 0
	v_or_b32_e32 v22, v10, v22
	s_or_b64 s[16:17], vcc, s[16:17]
	v_or_b32_e32 v21, v9, v21
	s_andn2_b64 exec, exec, s[16:17]
	s_cbranch_execnz .LBB1_46
; %bb.47:                               ;   in Loop: Header=BB1_3 Depth=1
	s_or_b64 exec, exec, s[16:17]
.LBB1_48:                               ;   in Loop: Header=BB1_3 Depth=1
	s_or_b64 exec, exec, s[14:15]
	v_mov_b32_e32 v9, v23
	v_mov_b32_e32 v10, v24
                                        ; implicit-def: $vgpr25
.LBB1_49:                               ;   in Loop: Header=BB1_3 Depth=1
	s_or_saveexec_b64 s[4:5], s[4:5]
	v_mov_b32_e32 v26, 0
	s_xor_b64 exec, exec, s[4:5]
	s_cbranch_execz .LBB1_51
; %bb.50:                               ;   in Loop: Header=BB1_3 Depth=1
	global_load_dwordx2 v[21:22], v[23:24], off
	v_add_u32_e32 v26, -8, v25
.LBB1_51:                               ;   in Loop: Header=BB1_3 Depth=1
	s_or_b64 exec, exec, s[4:5]
	v_cmp_gt_u32_e32 vcc, 8, v26
	s_and_saveexec_b64 s[4:5], vcc
	s_xor_b64 s[4:5], exec, s[4:5]
	s_cbranch_execz .LBB1_57
; %bb.52:                               ;   in Loop: Header=BB1_3 Depth=1
	v_mov_b32_e32 v23, 0
	v_mov_b32_e32 v24, 0
	v_cmp_ne_u32_e32 vcc, 0, v26
	s_and_saveexec_b64 s[14:15], vcc
	s_cbranch_execz .LBB1_56
; %bb.53:                               ;   in Loop: Header=BB1_3 Depth=1
	v_mov_b32_e32 v23, 0
	s_mov_b64 s[16:17], 0
	v_mov_b32_e32 v24, 0
	s_mov_b64 s[18:19], 0
.LBB1_54:                               ;   Parent Loop BB1_3 Depth=1
                                        ; =>  This Inner Loop Header: Depth=2
	global_load_ubyte v25, v[9:10], off
	v_mov_b32_e32 v28, s22
	v_add_co_u32_e32 v9, vcc, 1, v9
	v_add_u32_e32 v26, -1, v26
	v_addc_co_u32_e32 v10, vcc, 0, v10, vcc
	v_cmp_eq_u32_e32 vcc, 0, v26
	s_waitcnt vmcnt(0)
	v_and_b32_e32 v27, 0xffff, v25
	v_lshlrev_b64 v[27:28], s18, v[27:28]
	s_add_u32 s18, s18, 8
	s_addc_u32 s19, s19, 0
	v_or_b32_e32 v24, v28, v24
	s_or_b64 s[16:17], vcc, s[16:17]
	v_or_b32_e32 v23, v27, v23
	s_andn2_b64 exec, exec, s[16:17]
	s_cbranch_execnz .LBB1_54
; %bb.55:                               ;   in Loop: Header=BB1_3 Depth=1
	s_or_b64 exec, exec, s[16:17]
.LBB1_56:                               ;   in Loop: Header=BB1_3 Depth=1
	s_or_b64 exec, exec, s[14:15]
                                        ; implicit-def: $vgpr9_vgpr10
.LBB1_57:                               ;   in Loop: Header=BB1_3 Depth=1
	s_andn2_saveexec_b64 s[4:5], s[4:5]
	s_cbranch_execz .LBB1_59
; %bb.58:                               ;   in Loop: Header=BB1_3 Depth=1
	global_load_dwordx2 v[23:24], v[9:10], off
.LBB1_59:                               ;   in Loop: Header=BB1_3 Depth=1
	s_or_b64 exec, exec, s[4:5]
	v_readfirstlane_b32 s4, v34
	v_mov_b32_e32 v9, 0
	v_mov_b32_e32 v10, 0
	v_cmp_eq_u32_e64 s[4:5], s4, v34
	s_and_saveexec_b64 s[14:15], s[4:5]
	s_cbranch_execz .LBB1_65
; %bb.60:                               ;   in Loop: Header=BB1_3 Depth=1
	s_waitcnt lgkmcnt(0)
	global_load_dwordx2 v[27:28], v29, s[12:13] offset:24 glc
	s_waitcnt vmcnt(0)
	buffer_wbinvl1_vol
	global_load_dwordx2 v[9:10], v29, s[12:13] offset:40
	global_load_dwordx2 v[25:26], v29, s[12:13]
	s_waitcnt vmcnt(1)
	v_and_b32_e32 v9, v9, v27
	v_and_b32_e32 v10, v10, v28
	v_mul_lo_u32 v10, v10, 24
	v_mul_hi_u32 v32, v9, 24
	v_mul_lo_u32 v9, v9, 24
	v_add_u32_e32 v10, v32, v10
	s_waitcnt vmcnt(0)
	v_add_co_u32_e32 v9, vcc, v25, v9
	v_addc_co_u32_e32 v10, vcc, v26, v10, vcc
	global_load_dwordx2 v[25:26], v[9:10], off glc
	s_waitcnt vmcnt(0)
	global_atomic_cmpswap_x2 v[9:10], v29, v[25:28], s[12:13] offset:24 glc
	s_waitcnt vmcnt(0)
	buffer_wbinvl1_vol
	v_cmp_ne_u64_e32 vcc, v[9:10], v[27:28]
	s_and_saveexec_b64 s[16:17], vcc
	s_cbranch_execz .LBB1_64
; %bb.61:                               ;   in Loop: Header=BB1_3 Depth=1
	s_mov_b64 s[18:19], 0
.LBB1_62:                               ;   Parent Loop BB1_3 Depth=1
                                        ; =>  This Inner Loop Header: Depth=2
	s_sleep 1
	global_load_dwordx2 v[25:26], v29, s[12:13] offset:40
	global_load_dwordx2 v[32:33], v29, s[12:13]
	v_mov_b32_e32 v28, v10
	v_mov_b32_e32 v27, v9
	s_waitcnt vmcnt(1)
	v_and_b32_e32 v9, v25, v27
	s_waitcnt vmcnt(0)
	v_mad_u64_u32 v[9:10], s[20:21], v9, 24, v[32:33]
	v_and_b32_e32 v25, v26, v28
	v_mad_u64_u32 v[25:26], s[20:21], v25, 24, v[10:11]
	v_mov_b32_e32 v10, v25
	global_load_dwordx2 v[25:26], v[9:10], off glc
	s_waitcnt vmcnt(0)
	global_atomic_cmpswap_x2 v[9:10], v29, v[25:28], s[12:13] offset:24 glc
	s_waitcnt vmcnt(0)
	buffer_wbinvl1_vol
	v_cmp_eq_u64_e32 vcc, v[9:10], v[27:28]
	s_or_b64 s[18:19], vcc, s[18:19]
	s_andn2_b64 exec, exec, s[18:19]
	s_cbranch_execnz .LBB1_62
; %bb.63:                               ;   in Loop: Header=BB1_3 Depth=1
	s_or_b64 exec, exec, s[18:19]
.LBB1_64:                               ;   in Loop: Header=BB1_3 Depth=1
	s_or_b64 exec, exec, s[16:17]
.LBB1_65:                               ;   in Loop: Header=BB1_3 Depth=1
	s_or_b64 exec, exec, s[14:15]
	s_waitcnt lgkmcnt(0)
	global_load_dwordx2 v[32:33], v29, s[12:13] offset:40
	global_load_dwordx4 v[25:28], v29, s[12:13]
	v_readfirstlane_b32 s15, v10
	v_readfirstlane_b32 s14, v9
	s_mov_b64 s[16:17], exec
	s_waitcnt vmcnt(1)
	v_readfirstlane_b32 s18, v32
	v_readfirstlane_b32 s19, v33
	s_and_b64 s[18:19], s[18:19], s[14:15]
	s_mul_i32 s20, s19, 24
	s_mul_hi_u32 s21, s18, 24
	s_mul_i32 s24, s18, 24
	s_add_i32 s20, s21, s20
	v_mov_b32_e32 v9, s20
	s_waitcnt vmcnt(0)
	v_add_co_u32_e32 v32, vcc, s24, v25
	v_addc_co_u32_e32 v33, vcc, v26, v9, vcc
	s_and_saveexec_b64 s[20:21], s[4:5]
	s_cbranch_execz .LBB1_67
; %bb.66:                               ;   in Loop: Header=BB1_3 Depth=1
	v_mov_b32_e32 v9, s16
	v_mov_b32_e32 v10, s17
	global_store_dwordx4 v[32:33], v[9:12], off offset:8
.LBB1_67:                               ;   in Loop: Header=BB1_3 Depth=1
	s_or_b64 exec, exec, s[20:21]
	s_lshl_b64 s[16:17], s[18:19], 12
	v_mov_b32_e32 v9, s17
	v_add_co_u32_e32 v27, vcc, s16, v27
	v_addc_co_u32_e32 v35, vcc, v28, v9, vcc
	v_cmp_gt_u64_e32 vcc, 57, v[4:5]
	v_and_b32_e32 v0, 0xffffff1f, v0
	v_cndmask_b32_e32 v9, 0, v6, vcc
	v_lshl_add_u32 v10, v30, 2, 28
	v_or_b32_e32 v0, v0, v9
	v_and_or_b32 v0, v10, s23, v0
	v_lshlrev_b32_e32 v36, 6, v34
	v_readfirstlane_b32 s16, v27
	v_readfirstlane_b32 s17, v35
	s_nop 4
	global_store_dwordx4 v36, v[0:3], s[16:17]
	global_store_dwordx4 v36, v[13:16], s[16:17] offset:16
	global_store_dwordx4 v36, v[17:20], s[16:17] offset:32
	global_store_dwordx4 v36, v[21:24], s[16:17] offset:48
	s_and_saveexec_b64 s[16:17], s[4:5]
	s_cbranch_execz .LBB1_75
; %bb.68:                               ;   in Loop: Header=BB1_3 Depth=1
	global_load_dwordx2 v[15:16], v29, s[12:13] offset:32 glc
	global_load_dwordx2 v[0:1], v29, s[12:13] offset:40
	v_mov_b32_e32 v13, s14
	v_mov_b32_e32 v14, s15
	s_waitcnt vmcnt(0)
	v_readfirstlane_b32 s18, v0
	v_readfirstlane_b32 s19, v1
	s_and_b64 s[18:19], s[18:19], s[14:15]
	s_mul_i32 s19, s19, 24
	s_mul_hi_u32 s20, s18, 24
	s_mul_i32 s18, s18, 24
	s_add_i32 s19, s20, s19
	v_mov_b32_e32 v0, s19
	v_add_co_u32_e32 v9, vcc, s18, v25
	v_addc_co_u32_e32 v10, vcc, v26, v0, vcc
	global_store_dwordx2 v[9:10], v[15:16], off
	s_waitcnt vmcnt(0)
	global_atomic_cmpswap_x2 v[2:3], v29, v[13:16], s[12:13] offset:32 glc
	s_waitcnt vmcnt(0)
	v_cmp_ne_u64_e32 vcc, v[2:3], v[15:16]
	s_and_saveexec_b64 s[18:19], vcc
	s_cbranch_execz .LBB1_71
; %bb.69:                               ;   in Loop: Header=BB1_3 Depth=1
	s_mov_b64 s[20:21], 0
.LBB1_70:                               ;   Parent Loop BB1_3 Depth=1
                                        ; =>  This Inner Loop Header: Depth=2
	s_sleep 1
	global_store_dwordx2 v[9:10], v[2:3], off
	v_mov_b32_e32 v0, s14
	v_mov_b32_e32 v1, s15
	s_waitcnt vmcnt(0)
	global_atomic_cmpswap_x2 v[0:1], v29, v[0:3], s[12:13] offset:32 glc
	s_waitcnt vmcnt(0)
	v_cmp_eq_u64_e32 vcc, v[0:1], v[2:3]
	v_mov_b32_e32 v3, v1
	s_or_b64 s[20:21], vcc, s[20:21]
	v_mov_b32_e32 v2, v0
	s_andn2_b64 exec, exec, s[20:21]
	s_cbranch_execnz .LBB1_70
.LBB1_71:                               ;   in Loop: Header=BB1_3 Depth=1
	s_or_b64 exec, exec, s[18:19]
	global_load_dwordx2 v[0:1], v29, s[12:13] offset:16
	s_mov_b64 s[20:21], exec
	v_mbcnt_lo_u32_b32 v2, s20, 0
	v_mbcnt_hi_u32_b32 v2, s21, v2
	v_cmp_eq_u32_e32 vcc, 0, v2
	s_and_saveexec_b64 s[18:19], vcc
	s_cbranch_execz .LBB1_73
; %bb.72:                               ;   in Loop: Header=BB1_3 Depth=1
	s_bcnt1_i32_b64 s20, s[20:21]
	v_mov_b32_e32 v28, s20
	s_waitcnt vmcnt(0)
	global_atomic_add_x2 v[0:1], v[28:29], off offset:8
.LBB1_73:                               ;   in Loop: Header=BB1_3 Depth=1
	s_or_b64 exec, exec, s[18:19]
	s_waitcnt vmcnt(0)
	global_load_dwordx2 v[2:3], v[0:1], off offset:16
	s_waitcnt vmcnt(0)
	v_cmp_eq_u64_e32 vcc, 0, v[2:3]
	s_cbranch_vccnz .LBB1_75
; %bb.74:                               ;   in Loop: Header=BB1_3 Depth=1
	global_load_dword v28, v[0:1], off offset:24
	s_waitcnt vmcnt(0)
	v_readfirstlane_b32 s18, v28
	s_and_b32 m0, s18, 0xffffff
	global_store_dwordx2 v[2:3], v[28:29], off
	s_sendmsg sendmsg(MSG_INTERRUPT)
.LBB1_75:                               ;   in Loop: Header=BB1_3 Depth=1
	s_or_b64 exec, exec, s[16:17]
	v_add_co_u32_e32 v0, vcc, v27, v36
	v_addc_co_u32_e32 v1, vcc, 0, v35, vcc
	s_branch .LBB1_79
.LBB1_76:                               ;   in Loop: Header=BB1_79 Depth=2
	s_or_b64 exec, exec, s[16:17]
	v_readfirstlane_b32 s16, v2
	s_cmp_eq_u32 s16, 0
	s_cbranch_scc1 .LBB1_78
; %bb.77:                               ;   in Loop: Header=BB1_79 Depth=2
	s_sleep 1
	s_cbranch_execnz .LBB1_79
	s_branch .LBB1_81
.LBB1_78:                               ;   in Loop: Header=BB1_3 Depth=1
	s_branch .LBB1_81
.LBB1_79:                               ;   Parent Loop BB1_3 Depth=1
                                        ; =>  This Inner Loop Header: Depth=2
	v_mov_b32_e32 v2, 1
	s_and_saveexec_b64 s[16:17], s[4:5]
	s_cbranch_execz .LBB1_76
; %bb.80:                               ;   in Loop: Header=BB1_79 Depth=2
	global_load_dword v2, v[32:33], off offset:20 glc
	s_waitcnt vmcnt(0)
	buffer_wbinvl1_vol
	v_and_b32_e32 v2, 1, v2
	s_branch .LBB1_76
.LBB1_81:                               ;   in Loop: Header=BB1_3 Depth=1
	global_load_dwordx2 v[0:1], v[0:1], off
	s_and_saveexec_b64 s[16:17], s[4:5]
	s_cbranch_execz .LBB1_2
; %bb.82:                               ;   in Loop: Header=BB1_3 Depth=1
	global_load_dwordx2 v[2:3], v29, s[12:13] offset:40
	global_load_dwordx2 v[17:18], v29, s[12:13] offset:24 glc
	global_load_dwordx2 v[9:10], v29, s[12:13]
	s_waitcnt vmcnt(2)
	v_readfirstlane_b32 s18, v2
	v_readfirstlane_b32 s19, v3
	s_add_u32 s20, s18, 1
	s_addc_u32 s21, s19, 0
	s_add_u32 s4, s20, s14
	s_addc_u32 s5, s21, s15
	s_cmp_eq_u64 s[4:5], 0
	s_cselect_b32 s5, s21, s5
	s_cselect_b32 s4, s20, s4
	s_and_b64 s[14:15], s[4:5], s[18:19]
	s_mul_i32 s15, s15, 24
	s_mul_hi_u32 s18, s14, 24
	s_mul_i32 s14, s14, 24
	s_add_i32 s15, s18, s15
	v_mov_b32_e32 v3, s15
	s_waitcnt vmcnt(0)
	v_add_co_u32_e32 v2, vcc, s14, v9
	v_addc_co_u32_e32 v3, vcc, v10, v3, vcc
	v_mov_b32_e32 v15, s4
	global_store_dwordx2 v[2:3], v[17:18], off
	v_mov_b32_e32 v16, s5
	s_waitcnt vmcnt(0)
	global_atomic_cmpswap_x2 v[15:16], v29, v[15:18], s[12:13] offset:24 glc
	s_waitcnt vmcnt(0)
	v_cmp_ne_u64_e32 vcc, v[15:16], v[17:18]
	s_and_b64 exec, exec, vcc
	s_cbranch_execz .LBB1_2
; %bb.83:                               ;   in Loop: Header=BB1_3 Depth=1
	s_mov_b64 s[14:15], 0
.LBB1_84:                               ;   Parent Loop BB1_3 Depth=1
                                        ; =>  This Inner Loop Header: Depth=2
	s_sleep 1
	global_store_dwordx2 v[2:3], v[15:16], off
	v_mov_b32_e32 v13, s4
	v_mov_b32_e32 v14, s5
	s_waitcnt vmcnt(0)
	global_atomic_cmpswap_x2 v[9:10], v29, v[13:16], s[12:13] offset:24 glc
	s_waitcnt vmcnt(0)
	v_cmp_eq_u64_e32 vcc, v[9:10], v[15:16]
	v_mov_b32_e32 v16, v10
	s_or_b64 s[14:15], vcc, s[14:15]
	v_mov_b32_e32 v15, v9
	s_andn2_b64 exec, exec, s[14:15]
	s_cbranch_execnz .LBB1_84
	s_branch .LBB1_2
.LBB1_85:
	s_or_b64 exec, exec, s[6:7]
                                        ; implicit-def: $vgpr3
                                        ; implicit-def: $vgpr2
.LBB1_86:
	s_andn2_saveexec_b64 s[6:7], s[10:11]
	s_cbranch_execz .LBB1_109
; %bb.87:
	s_load_dwordx2 s[8:9], s[8:9], 0x50
	v_mbcnt_hi_u32_b32 v10, -1, v2
	v_readfirstlane_b32 s4, v10
	v_mov_b32_e32 v8, 0
	v_mov_b32_e32 v9, 0
	v_cmp_eq_u32_e64 s[4:5], s4, v10
	s_and_saveexec_b64 s[10:11], s[4:5]
	s_cbranch_execz .LBB1_93
; %bb.88:
	s_waitcnt vmcnt(0)
	v_mov_b32_e32 v0, 0
	s_waitcnt lgkmcnt(0)
	global_load_dwordx2 v[6:7], v0, s[8:9] offset:24 glc
	s_waitcnt vmcnt(0)
	buffer_wbinvl1_vol
	global_load_dwordx2 v[4:5], v0, s[8:9] offset:40
	global_load_dwordx2 v[8:9], v0, s[8:9]
	s_waitcnt vmcnt(1)
	v_and_b32_e32 v2, v4, v6
	v_and_b32_e32 v4, v5, v7
	v_mul_lo_u32 v4, v4, 24
	v_mul_hi_u32 v5, v2, 24
	v_mul_lo_u32 v2, v2, 24
	v_add_u32_e32 v5, v5, v4
	s_waitcnt vmcnt(0)
	v_add_co_u32_e32 v4, vcc, v8, v2
	v_addc_co_u32_e32 v5, vcc, v9, v5, vcc
	global_load_dwordx2 v[4:5], v[4:5], off glc
	s_waitcnt vmcnt(0)
	global_atomic_cmpswap_x2 v[8:9], v0, v[4:7], s[8:9] offset:24 glc
	s_waitcnt vmcnt(0)
	buffer_wbinvl1_vol
	v_cmp_ne_u64_e32 vcc, v[8:9], v[6:7]
	s_and_saveexec_b64 s[12:13], vcc
	s_cbranch_execz .LBB1_92
; %bb.89:
	s_mov_b64 s[14:15], 0
.LBB1_90:                               ; =>This Inner Loop Header: Depth=1
	s_sleep 1
	global_load_dwordx2 v[4:5], v0, s[8:9] offset:40
	global_load_dwordx2 v[11:12], v0, s[8:9]
	v_mov_b32_e32 v6, v8
	v_mov_b32_e32 v7, v9
	s_waitcnt vmcnt(1)
	v_and_b32_e32 v2, v4, v6
	s_waitcnt vmcnt(0)
	v_mad_u64_u32 v[8:9], s[16:17], v2, 24, v[11:12]
	v_and_b32_e32 v4, v5, v7
	v_mov_b32_e32 v2, v9
	v_mad_u64_u32 v[4:5], s[16:17], v4, 24, v[2:3]
	v_mov_b32_e32 v9, v4
	global_load_dwordx2 v[4:5], v[8:9], off glc
	s_waitcnt vmcnt(0)
	global_atomic_cmpswap_x2 v[8:9], v0, v[4:7], s[8:9] offset:24 glc
	s_waitcnt vmcnt(0)
	buffer_wbinvl1_vol
	v_cmp_eq_u64_e32 vcc, v[8:9], v[6:7]
	s_or_b64 s[14:15], vcc, s[14:15]
	s_andn2_b64 exec, exec, s[14:15]
	s_cbranch_execnz .LBB1_90
; %bb.91:
	s_or_b64 exec, exec, s[14:15]
.LBB1_92:
	s_or_b64 exec, exec, s[12:13]
.LBB1_93:
	s_or_b64 exec, exec, s[10:11]
	v_mov_b32_e32 v2, 0
	s_waitcnt lgkmcnt(0)
	global_load_dwordx2 v[11:12], v2, s[8:9] offset:40
	global_load_dwordx4 v[4:7], v2, s[8:9]
	v_readfirstlane_b32 s11, v9
	v_readfirstlane_b32 s10, v8
	s_mov_b64 s[12:13], exec
	s_waitcnt vmcnt(1)
	v_readfirstlane_b32 s14, v11
	v_readfirstlane_b32 s15, v12
	s_and_b64 s[14:15], s[14:15], s[10:11]
	s_mul_i32 s16, s15, 24
	s_mul_hi_u32 s17, s14, 24
	s_mul_i32 s18, s14, 24
	s_add_i32 s16, s17, s16
	v_mov_b32_e32 v0, s16
	s_waitcnt vmcnt(0)
	v_add_co_u32_e32 v8, vcc, s18, v4
	v_addc_co_u32_e32 v9, vcc, v5, v0, vcc
	s_and_saveexec_b64 s[16:17], s[4:5]
	s_cbranch_execz .LBB1_95
; %bb.94:
	v_mov_b32_e32 v11, s12
	v_mov_b32_e32 v12, s13
	v_mov_b32_e32 v13, 2
	v_mov_b32_e32 v14, 1
	global_store_dwordx4 v[8:9], v[11:14], off offset:8
.LBB1_95:
	s_or_b64 exec, exec, s[16:17]
	s_lshl_b64 s[12:13], s[14:15], 12
	v_mov_b32_e32 v0, s13
	v_add_co_u32_e32 v11, vcc, s12, v6
	v_addc_co_u32_e32 v12, vcc, v7, v0, vcc
	s_movk_i32 s12, 0xff1f
	v_and_or_b32 v0, v3, s12, 32
	v_lshlrev_b32_e32 v10, 6, v10
	s_mov_b32 s12, 0
	v_mov_b32_e32 v3, v2
	v_readfirstlane_b32 s16, v11
	v_readfirstlane_b32 s17, v12
	v_add_co_u32_e32 v6, vcc, v11, v10
	s_mov_b32 s13, s12
	s_mov_b32 s14, s12
	;; [unrolled: 1-line block ×3, first 2 shown]
	s_nop 0
	global_store_dwordx4 v10, v[0:3], s[16:17]
	v_addc_co_u32_e32 v7, vcc, 0, v12, vcc
	v_mov_b32_e32 v0, s12
	v_mov_b32_e32 v1, s13
	;; [unrolled: 1-line block ×4, first 2 shown]
	global_store_dwordx4 v10, v[0:3], s[16:17] offset:16
	global_store_dwordx4 v10, v[0:3], s[16:17] offset:32
	;; [unrolled: 1-line block ×3, first 2 shown]
	s_and_saveexec_b64 s[12:13], s[4:5]
	s_cbranch_execz .LBB1_103
; %bb.96:
	v_mov_b32_e32 v10, 0
	global_load_dwordx2 v[13:14], v10, s[8:9] offset:32 glc
	global_load_dwordx2 v[0:1], v10, s[8:9] offset:40
	v_mov_b32_e32 v11, s10
	v_mov_b32_e32 v12, s11
	s_waitcnt vmcnt(0)
	v_and_b32_e32 v0, s10, v0
	v_and_b32_e32 v1, s11, v1
	v_mul_lo_u32 v1, v1, 24
	v_mul_hi_u32 v2, v0, 24
	v_mul_lo_u32 v0, v0, 24
	v_add_u32_e32 v1, v2, v1
	v_add_co_u32_e32 v4, vcc, v4, v0
	v_addc_co_u32_e32 v5, vcc, v5, v1, vcc
	global_store_dwordx2 v[4:5], v[13:14], off
	s_waitcnt vmcnt(0)
	global_atomic_cmpswap_x2 v[2:3], v10, v[11:14], s[8:9] offset:32 glc
	s_waitcnt vmcnt(0)
	v_cmp_ne_u64_e32 vcc, v[2:3], v[13:14]
	s_and_saveexec_b64 s[14:15], vcc
	s_cbranch_execz .LBB1_99
; %bb.97:
	s_mov_b64 s[16:17], 0
.LBB1_98:                               ; =>This Inner Loop Header: Depth=1
	s_sleep 1
	global_store_dwordx2 v[4:5], v[2:3], off
	v_mov_b32_e32 v0, s10
	v_mov_b32_e32 v1, s11
	s_waitcnt vmcnt(0)
	global_atomic_cmpswap_x2 v[0:1], v10, v[0:3], s[8:9] offset:32 glc
	s_waitcnt vmcnt(0)
	v_cmp_eq_u64_e32 vcc, v[0:1], v[2:3]
	v_mov_b32_e32 v3, v1
	s_or_b64 s[16:17], vcc, s[16:17]
	v_mov_b32_e32 v2, v0
	s_andn2_b64 exec, exec, s[16:17]
	s_cbranch_execnz .LBB1_98
.LBB1_99:
	s_or_b64 exec, exec, s[14:15]
	v_mov_b32_e32 v3, 0
	global_load_dwordx2 v[0:1], v3, s[8:9] offset:16
	s_mov_b64 s[14:15], exec
	v_mbcnt_lo_u32_b32 v2, s14, 0
	v_mbcnt_hi_u32_b32 v2, s15, v2
	v_cmp_eq_u32_e32 vcc, 0, v2
	s_and_saveexec_b64 s[16:17], vcc
	s_cbranch_execz .LBB1_101
; %bb.100:
	s_bcnt1_i32_b64 s14, s[14:15]
	v_mov_b32_e32 v2, s14
	s_waitcnt vmcnt(0)
	global_atomic_add_x2 v[0:1], v[2:3], off offset:8
.LBB1_101:
	s_or_b64 exec, exec, s[16:17]
	s_waitcnt vmcnt(0)
	global_load_dwordx2 v[2:3], v[0:1], off offset:16
	s_waitcnt vmcnt(0)
	v_cmp_eq_u64_e32 vcc, 0, v[2:3]
	s_cbranch_vccnz .LBB1_103
; %bb.102:
	global_load_dword v0, v[0:1], off offset:24
	v_mov_b32_e32 v1, 0
	s_waitcnt vmcnt(0)
	v_readfirstlane_b32 s14, v0
	s_and_b32 m0, s14, 0xffffff
	global_store_dwordx2 v[2:3], v[0:1], off
	s_sendmsg sendmsg(MSG_INTERRUPT)
.LBB1_103:
	s_or_b64 exec, exec, s[12:13]
	s_branch .LBB1_107
.LBB1_104:                              ;   in Loop: Header=BB1_107 Depth=1
	s_or_b64 exec, exec, s[12:13]
	v_readfirstlane_b32 s12, v0
	s_cmp_eq_u32 s12, 0
	s_cbranch_scc1 .LBB1_106
; %bb.105:                              ;   in Loop: Header=BB1_107 Depth=1
	s_sleep 1
	s_cbranch_execnz .LBB1_107
	s_branch .LBB1_110
.LBB1_106:
	s_branch .LBB1_110
.LBB1_107:                              ; =>This Inner Loop Header: Depth=1
	v_mov_b32_e32 v0, 1
	s_and_saveexec_b64 s[12:13], s[4:5]
	s_cbranch_execz .LBB1_104
; %bb.108:                              ;   in Loop: Header=BB1_107 Depth=1
	global_load_dword v0, v[8:9], off offset:20 glc
	s_waitcnt vmcnt(0)
	buffer_wbinvl1_vol
	v_and_b32_e32 v0, 1, v0
	s_branch .LBB1_104
.LBB1_109:
	s_or_b64 exec, exec, s[6:7]
	s_waitcnt vmcnt(0) lgkmcnt(0)
	s_setpc_b64 s[30:31]
.LBB1_110:
	global_load_dwordx2 v[0:1], v[6:7], off
	s_and_saveexec_b64 s[12:13], s[4:5]
	s_cbranch_execz .LBB1_113
; %bb.111:
	v_mov_b32_e32 v8, 0
	global_load_dwordx2 v[2:3], v8, s[8:9] offset:40
	global_load_dwordx2 v[11:12], v8, s[8:9] offset:24 glc
	global_load_dwordx2 v[4:5], v8, s[8:9]
	s_waitcnt vmcnt(2)
	v_readfirstlane_b32 s14, v2
	v_readfirstlane_b32 s15, v3
	s_add_u32 s16, s14, 1
	s_addc_u32 s17, s15, 0
	s_add_u32 s4, s16, s10
	s_addc_u32 s5, s17, s11
	s_cmp_eq_u64 s[4:5], 0
	s_cselect_b32 s5, s17, s5
	s_cselect_b32 s4, s16, s4
	s_and_b64 s[10:11], s[4:5], s[14:15]
	s_mul_i32 s11, s11, 24
	s_mul_hi_u32 s14, s10, 24
	s_mul_i32 s10, s10, 24
	s_add_i32 s11, s14, s11
	v_mov_b32_e32 v2, s11
	s_waitcnt vmcnt(0)
	v_add_co_u32_e32 v6, vcc, s10, v4
	v_addc_co_u32_e32 v7, vcc, v5, v2, vcc
	v_mov_b32_e32 v9, s4
	global_store_dwordx2 v[6:7], v[11:12], off
	v_mov_b32_e32 v10, s5
	s_waitcnt vmcnt(0)
	global_atomic_cmpswap_x2 v[4:5], v8, v[9:12], s[8:9] offset:24 glc
	s_mov_b64 s[10:11], 0
	s_waitcnt vmcnt(0)
	v_cmp_ne_u64_e32 vcc, v[4:5], v[11:12]
	s_and_b64 exec, exec, vcc
	s_cbranch_execz .LBB1_113
.LBB1_112:                              ; =>This Inner Loop Header: Depth=1
	s_sleep 1
	global_store_dwordx2 v[6:7], v[4:5], off
	v_mov_b32_e32 v2, s4
	v_mov_b32_e32 v3, s5
	s_waitcnt vmcnt(0)
	global_atomic_cmpswap_x2 v[2:3], v8, v[2:5], s[8:9] offset:24 glc
	s_waitcnt vmcnt(0)
	v_cmp_eq_u64_e32 vcc, v[2:3], v[4:5]
	v_mov_b32_e32 v5, v3
	s_or_b64 s[10:11], vcc, s[10:11]
	v_mov_b32_e32 v4, v2
	s_andn2_b64 exec, exec, s[10:11]
	s_cbranch_execnz .LBB1_112
.LBB1_113:
	s_or_b64 exec, exec, s[12:13]
	s_or_b64 exec, exec, s[6:7]
	s_waitcnt vmcnt(0) lgkmcnt(0)
	s_setpc_b64 s[30:31]
.Lfunc_end1:
	.size	__ockl_printf_append_string_n, .Lfunc_end1-__ockl_printf_append_string_n
                                        ; -- End function
	.set .L__ockl_printf_append_string_n.num_vgpr, 37
	.set .L__ockl_printf_append_string_n.num_agpr, 0
	.set .L__ockl_printf_append_string_n.numbered_sgpr, 32
	.set .L__ockl_printf_append_string_n.num_named_barrier, 0
	.set .L__ockl_printf_append_string_n.private_seg_size, 0
	.set .L__ockl_printf_append_string_n.uses_vcc, 1
	.set .L__ockl_printf_append_string_n.uses_flat_scratch, 0
	.set .L__ockl_printf_append_string_n.has_dyn_sized_stack, 0
	.set .L__ockl_printf_append_string_n.has_recursion, 0
	.set .L__ockl_printf_append_string_n.has_indirect_call, 0
	.section	.AMDGPU.csdata,"",@progbits
; Function info:
; codeLenInByte = 3876
; TotalNumSgprs: 36
; NumVgprs: 37
; ScratchSize: 0
; MemoryBound: 0
	.text
	.protected	_Z8printAIGPKiS0_S0_iii ; -- Begin function _Z8printAIGPKiS0_S0_iii
	.globl	_Z8printAIGPKiS0_S0_iii
	.p2align	8
	.type	_Z8printAIGPKiS0_S0_iii,@function
_Z8printAIGPKiS0_S0_iii:                ; @_Z8printAIGPKiS0_S0_iii
; %bb.0:
	s_load_dwordx2 s[34:35], s[4:5], 0x78
	v_mbcnt_lo_u32_b32 v0, -1, 0
	v_mbcnt_hi_u32_b32 v38, -1, v0
	s_add_u32 s0, s0, s7
	s_mov_b64 s[26:27], s[4:5]
	v_readfirstlane_b32 s4, v38
	v_mov_b32_e32 v5, 0
	s_addc_u32 s1, s1, 0
	v_mov_b32_e32 v6, 0
	v_cmp_eq_u32_e64 s[4:5], s4, v38
	s_mov_b32 s32, 0
	s_and_saveexec_b64 s[6:7], s[4:5]
	s_cbranch_execz .LBB2_6
; %bb.1:
	v_mov_b32_e32 v0, 0
	s_waitcnt lgkmcnt(0)
	global_load_dwordx2 v[3:4], v0, s[34:35] offset:24 glc
	s_waitcnt vmcnt(0)
	buffer_wbinvl1_vol
	global_load_dwordx2 v[1:2], v0, s[34:35] offset:40
	global_load_dwordx2 v[5:6], v0, s[34:35]
	s_waitcnt vmcnt(1)
	v_and_b32_e32 v1, v1, v3
	v_and_b32_e32 v2, v2, v4
	v_mul_lo_u32 v2, v2, 24
	v_mul_hi_u32 v7, v1, 24
	v_mul_lo_u32 v1, v1, 24
	v_add_u32_e32 v2, v7, v2
	s_waitcnt vmcnt(0)
	v_add_co_u32_e32 v1, vcc, v5, v1
	v_addc_co_u32_e32 v2, vcc, v6, v2, vcc
	global_load_dwordx2 v[1:2], v[1:2], off glc
	s_waitcnt vmcnt(0)
	global_atomic_cmpswap_x2 v[5:6], v0, v[1:4], s[34:35] offset:24 glc
	s_waitcnt vmcnt(0)
	buffer_wbinvl1_vol
	v_cmp_ne_u64_e32 vcc, v[5:6], v[3:4]
	s_and_saveexec_b64 s[8:9], vcc
	s_cbranch_execz .LBB2_5
; %bb.2:
	s_mov_b64 s[10:11], 0
.LBB2_3:                                ; =>This Inner Loop Header: Depth=1
	s_sleep 1
	global_load_dwordx2 v[1:2], v0, s[34:35] offset:40
	global_load_dwordx2 v[7:8], v0, s[34:35]
	v_mov_b32_e32 v3, v5
	v_mov_b32_e32 v4, v6
	s_waitcnt vmcnt(1)
	v_and_b32_e32 v1, v1, v3
	s_waitcnt vmcnt(0)
	v_mad_u64_u32 v[5:6], s[12:13], v1, 24, v[7:8]
	v_and_b32_e32 v2, v2, v4
	v_mov_b32_e32 v1, v6
	v_mad_u64_u32 v[1:2], s[12:13], v2, 24, v[1:2]
	v_mov_b32_e32 v6, v1
	global_load_dwordx2 v[1:2], v[5:6], off glc
	s_waitcnt vmcnt(0)
	global_atomic_cmpswap_x2 v[5:6], v0, v[1:4], s[34:35] offset:24 glc
	s_waitcnt vmcnt(0)
	buffer_wbinvl1_vol
	v_cmp_eq_u64_e32 vcc, v[5:6], v[3:4]
	s_or_b64 s[10:11], vcc, s[10:11]
	s_andn2_b64 exec, exec, s[10:11]
	s_cbranch_execnz .LBB2_3
; %bb.4:
	s_or_b64 exec, exec, s[10:11]
.LBB2_5:
	s_or_b64 exec, exec, s[8:9]
.LBB2_6:
	s_or_b64 exec, exec, s[6:7]
	v_mov_b32_e32 v4, 0
	s_waitcnt lgkmcnt(0)
	global_load_dwordx2 v[7:8], v4, s[34:35] offset:40
	global_load_dwordx4 v[0:3], v4, s[34:35]
	v_readfirstlane_b32 s7, v6
	v_readfirstlane_b32 s6, v5
	s_mov_b64 s[8:9], exec
	s_waitcnt vmcnt(1)
	v_readfirstlane_b32 s10, v7
	v_readfirstlane_b32 s11, v8
	s_and_b64 s[10:11], s[10:11], s[6:7]
	s_mul_i32 s12, s11, 24
	s_mul_hi_u32 s13, s10, 24
	s_mul_i32 s14, s10, 24
	s_add_i32 s12, s13, s12
	v_mov_b32_e32 v5, s12
	s_waitcnt vmcnt(0)
	v_add_co_u32_e32 v7, vcc, s14, v0
	v_addc_co_u32_e32 v8, vcc, v1, v5, vcc
	s_and_saveexec_b64 s[12:13], s[4:5]
	s_cbranch_execz .LBB2_8
; %bb.7:
	v_mov_b32_e32 v10, s9
	v_mov_b32_e32 v9, s8
	;; [unrolled: 1-line block ×4, first 2 shown]
	global_store_dwordx4 v[7:8], v[9:12], off offset:8
.LBB2_8:
	s_or_b64 exec, exec, s[12:13]
	s_lshl_b64 s[8:9], s[10:11], 12
	v_mov_b32_e32 v5, s9
	v_add_co_u32_e32 v2, vcc, s8, v2
	v_addc_co_u32_e32 v11, vcc, v3, v5, vcc
	v_lshlrev_b32_e32 v37, 6, v38
	s_mov_b32 s8, 0
	v_mov_b32_e32 v3, 33
	v_mov_b32_e32 v5, v4
	;; [unrolled: 1-line block ×3, first 2 shown]
	v_readfirstlane_b32 s12, v2
	v_readfirstlane_b32 s13, v11
	v_add_co_u32_e32 v9, vcc, v2, v37
	s_mov_b32 s9, s8
	s_mov_b32 s10, s8
	;; [unrolled: 1-line block ×3, first 2 shown]
	s_nop 0
	global_store_dwordx4 v37, v[3:6], s[12:13]
	v_mov_b32_e32 v2, s8
	v_addc_co_u32_e32 v10, vcc, 0, v11, vcc
	v_mov_b32_e32 v3, s9
	v_mov_b32_e32 v4, s10
	;; [unrolled: 1-line block ×3, first 2 shown]
	global_store_dwordx4 v37, v[2:5], s[12:13] offset:16
	global_store_dwordx4 v37, v[2:5], s[12:13] offset:32
	;; [unrolled: 1-line block ×3, first 2 shown]
	s_and_saveexec_b64 s[8:9], s[4:5]
	s_cbranch_execz .LBB2_16
; %bb.9:
	v_mov_b32_e32 v6, 0
	global_load_dwordx2 v[13:14], v6, s[34:35] offset:32 glc
	global_load_dwordx2 v[2:3], v6, s[34:35] offset:40
	v_mov_b32_e32 v11, s6
	v_mov_b32_e32 v12, s7
	s_waitcnt vmcnt(0)
	v_and_b32_e32 v2, s6, v2
	v_and_b32_e32 v3, s7, v3
	v_mul_lo_u32 v3, v3, 24
	v_mul_hi_u32 v4, v2, 24
	v_mul_lo_u32 v2, v2, 24
	v_add_u32_e32 v3, v4, v3
	v_add_co_u32_e32 v4, vcc, v0, v2
	v_addc_co_u32_e32 v5, vcc, v1, v3, vcc
	global_store_dwordx2 v[4:5], v[13:14], off
	s_waitcnt vmcnt(0)
	global_atomic_cmpswap_x2 v[2:3], v6, v[11:14], s[34:35] offset:32 glc
	s_waitcnt vmcnt(0)
	v_cmp_ne_u64_e32 vcc, v[2:3], v[13:14]
	s_and_saveexec_b64 s[10:11], vcc
	s_cbranch_execz .LBB2_12
; %bb.10:
	s_mov_b64 s[12:13], 0
.LBB2_11:                               ; =>This Inner Loop Header: Depth=1
	s_sleep 1
	global_store_dwordx2 v[4:5], v[2:3], off
	v_mov_b32_e32 v0, s6
	v_mov_b32_e32 v1, s7
	s_waitcnt vmcnt(0)
	global_atomic_cmpswap_x2 v[0:1], v6, v[0:3], s[34:35] offset:32 glc
	s_waitcnt vmcnt(0)
	v_cmp_eq_u64_e32 vcc, v[0:1], v[2:3]
	v_mov_b32_e32 v3, v1
	s_or_b64 s[12:13], vcc, s[12:13]
	v_mov_b32_e32 v2, v0
	s_andn2_b64 exec, exec, s[12:13]
	s_cbranch_execnz .LBB2_11
.LBB2_12:
	s_or_b64 exec, exec, s[10:11]
	v_mov_b32_e32 v3, 0
	global_load_dwordx2 v[0:1], v3, s[34:35] offset:16
	s_mov_b64 s[10:11], exec
	v_mbcnt_lo_u32_b32 v2, s10, 0
	v_mbcnt_hi_u32_b32 v2, s11, v2
	v_cmp_eq_u32_e32 vcc, 0, v2
	s_and_saveexec_b64 s[12:13], vcc
	s_cbranch_execz .LBB2_14
; %bb.13:
	s_bcnt1_i32_b64 s10, s[10:11]
	v_mov_b32_e32 v2, s10
	s_waitcnt vmcnt(0)
	global_atomic_add_x2 v[0:1], v[2:3], off offset:8
.LBB2_14:
	s_or_b64 exec, exec, s[12:13]
	s_waitcnt vmcnt(0)
	global_load_dwordx2 v[2:3], v[0:1], off offset:16
	s_waitcnt vmcnt(0)
	v_cmp_eq_u64_e32 vcc, 0, v[2:3]
	s_cbranch_vccnz .LBB2_16
; %bb.15:
	global_load_dword v0, v[0:1], off offset:24
	v_mov_b32_e32 v1, 0
	s_waitcnt vmcnt(0)
	v_readfirstlane_b32 s10, v0
	s_and_b32 m0, s10, 0xffffff
	global_store_dwordx2 v[2:3], v[0:1], off
	s_sendmsg sendmsg(MSG_INTERRUPT)
.LBB2_16:
	s_or_b64 exec, exec, s[8:9]
	s_branch .LBB2_20
.LBB2_17:                               ;   in Loop: Header=BB2_20 Depth=1
	s_or_b64 exec, exec, s[8:9]
	v_readfirstlane_b32 s8, v0
	s_cmp_eq_u32 s8, 0
	s_cbranch_scc1 .LBB2_19
; %bb.18:                               ;   in Loop: Header=BB2_20 Depth=1
	s_sleep 1
	s_cbranch_execnz .LBB2_20
	s_branch .LBB2_22
.LBB2_19:
	s_branch .LBB2_22
.LBB2_20:                               ; =>This Inner Loop Header: Depth=1
	v_mov_b32_e32 v0, 1
	s_and_saveexec_b64 s[8:9], s[4:5]
	s_cbranch_execz .LBB2_17
; %bb.21:                               ;   in Loop: Header=BB2_20 Depth=1
	global_load_dword v0, v[7:8], off offset:20 glc
	s_waitcnt vmcnt(0)
	buffer_wbinvl1_vol
	v_and_b32_e32 v0, 1, v0
	s_branch .LBB2_17
.LBB2_22:
	global_load_dwordx2 v[0:1], v[9:10], off
	s_and_saveexec_b64 s[8:9], s[4:5]
	s_cbranch_execz .LBB2_25
; %bb.23:
	v_mov_b32_e32 v8, 0
	global_load_dwordx2 v[2:3], v8, s[34:35] offset:40
	global_load_dwordx2 v[11:12], v8, s[34:35] offset:24 glc
	global_load_dwordx2 v[4:5], v8, s[34:35]
	s_waitcnt vmcnt(2)
	v_readfirstlane_b32 s10, v2
	v_readfirstlane_b32 s11, v3
	s_add_u32 s12, s10, 1
	s_addc_u32 s13, s11, 0
	s_add_u32 s4, s12, s6
	s_addc_u32 s5, s13, s7
	s_cmp_eq_u64 s[4:5], 0
	s_cselect_b32 s5, s13, s5
	s_cselect_b32 s4, s12, s4
	s_and_b64 s[6:7], s[4:5], s[10:11]
	s_mul_i32 s7, s7, 24
	s_mul_hi_u32 s10, s6, 24
	s_mul_i32 s6, s6, 24
	s_add_i32 s7, s10, s7
	v_mov_b32_e32 v2, s7
	s_waitcnt vmcnt(0)
	v_add_co_u32_e32 v6, vcc, s6, v4
	v_addc_co_u32_e32 v7, vcc, v5, v2, vcc
	v_mov_b32_e32 v9, s4
	global_store_dwordx2 v[6:7], v[11:12], off
	v_mov_b32_e32 v10, s5
	s_waitcnt vmcnt(0)
	global_atomic_cmpswap_x2 v[4:5], v8, v[9:12], s[34:35] offset:24 glc
	s_mov_b64 s[6:7], 0
	s_waitcnt vmcnt(0)
	v_cmp_ne_u64_e32 vcc, v[4:5], v[11:12]
	s_and_b64 exec, exec, vcc
	s_cbranch_execz .LBB2_25
.LBB2_24:                               ; =>This Inner Loop Header: Depth=1
	s_sleep 1
	global_store_dwordx2 v[6:7], v[4:5], off
	v_mov_b32_e32 v2, s4
	v_mov_b32_e32 v3, s5
	s_waitcnt vmcnt(0)
	global_atomic_cmpswap_x2 v[2:3], v8, v[2:5], s[34:35] offset:24 glc
	s_waitcnt vmcnt(0)
	v_cmp_eq_u64_e32 vcc, v[2:3], v[4:5]
	v_mov_b32_e32 v5, v3
	s_or_b64 s[6:7], vcc, s[6:7]
	v_mov_b32_e32 v4, v2
	s_andn2_b64 exec, exec, s[6:7]
	s_cbranch_execnz .LBB2_24
.LBB2_25:
	s_or_b64 exec, exec, s[8:9]
	s_getpc_b64 s[6:7]
	s_add_u32 s6, s6, .str.6@rel32@lo+4
	s_addc_u32 s7, s7, .str.6@rel32@hi+12
	s_cmp_lg_u64 s[6:7], 0
	s_cbranch_scc0 .LBB2_111
; %bb.26:
	s_waitcnt vmcnt(0)
	v_and_b32_e32 v6, -3, v0
	v_mov_b32_e32 v7, v1
	s_mov_b64 s[8:9], 19
	v_mov_b32_e32 v26, 0
	v_mov_b32_e32 v4, 2
	;; [unrolled: 1-line block ×3, first 2 shown]
	s_branch .LBB2_28
.LBB2_27:                               ;   in Loop: Header=BB2_28 Depth=1
	s_or_b64 exec, exec, s[14:15]
	s_sub_u32 s8, s8, s10
	s_subb_u32 s9, s9, s11
	s_add_u32 s6, s6, s10
	s_addc_u32 s7, s7, s11
	s_cmp_lg_u64 s[8:9], 0
	s_cbranch_scc0 .LBB2_110
.LBB2_28:                               ; =>This Loop Header: Depth=1
                                        ;     Child Loop BB2_31 Depth 2
                                        ;     Child Loop BB2_39 Depth 2
	;; [unrolled: 1-line block ×11, first 2 shown]
	v_cmp_lt_u64_e64 s[4:5], s[8:9], 56
	v_cmp_gt_u64_e64 s[12:13], s[8:9], 7
	s_and_b64 s[4:5], s[4:5], exec
	s_cselect_b32 s11, s9, 0
	s_cselect_b32 s10, s8, 56
	s_add_u32 s4, s6, 8
	s_addc_u32 s5, s7, 0
	s_and_b64 vcc, exec, s[12:13]
	s_cbranch_vccnz .LBB2_32
; %bb.29:                               ;   in Loop: Header=BB2_28 Depth=1
	s_cmp_eq_u64 s[8:9], 0
	s_cbranch_scc1 .LBB2_33
; %bb.30:                               ;   in Loop: Header=BB2_28 Depth=1
	s_waitcnt vmcnt(0)
	v_mov_b32_e32 v8, 0
	s_lshl_b64 s[4:5], s[10:11], 3
	s_mov_b64 s[12:13], 0
	v_mov_b32_e32 v9, 0
	s_mov_b64 s[14:15], s[6:7]
.LBB2_31:                               ;   Parent Loop BB2_28 Depth=1
                                        ; =>  This Inner Loop Header: Depth=2
	global_load_ubyte v2, v26, s[14:15]
	s_waitcnt vmcnt(0)
	v_and_b32_e32 v25, 0xffff, v2
	v_lshlrev_b64 v[2:3], s12, v[25:26]
	s_add_u32 s12, s12, 8
	s_addc_u32 s13, s13, 0
	s_add_u32 s14, s14, 1
	s_addc_u32 s15, s15, 0
	v_or_b32_e32 v8, v2, v8
	s_cmp_lg_u32 s4, s12
	v_or_b32_e32 v9, v3, v9
	s_cbranch_scc1 .LBB2_31
	s_branch .LBB2_34
.LBB2_32:                               ;   in Loop: Header=BB2_28 Depth=1
	s_mov_b32 s16, 0
	s_branch .LBB2_35
.LBB2_33:                               ;   in Loop: Header=BB2_28 Depth=1
	s_waitcnt vmcnt(0)
	v_mov_b32_e32 v8, 0
	v_mov_b32_e32 v9, 0
.LBB2_34:                               ;   in Loop: Header=BB2_28 Depth=1
	s_mov_b64 s[4:5], s[6:7]
	s_mov_b32 s16, 0
	s_cbranch_execnz .LBB2_36
.LBB2_35:                               ;   in Loop: Header=BB2_28 Depth=1
	global_load_dwordx2 v[8:9], v26, s[6:7]
	s_add_i32 s16, s10, -8
.LBB2_36:                               ;   in Loop: Header=BB2_28 Depth=1
	s_add_u32 s12, s4, 8
	s_addc_u32 s13, s5, 0
	s_cmp_gt_u32 s16, 7
	s_cbranch_scc1 .LBB2_40
; %bb.37:                               ;   in Loop: Header=BB2_28 Depth=1
	s_cmp_eq_u32 s16, 0
	s_cbranch_scc1 .LBB2_41
; %bb.38:                               ;   in Loop: Header=BB2_28 Depth=1
	v_mov_b32_e32 v10, 0
	s_mov_b64 s[12:13], 0
	v_mov_b32_e32 v11, 0
	s_mov_b64 s[14:15], 0
.LBB2_39:                               ;   Parent Loop BB2_28 Depth=1
                                        ; =>  This Inner Loop Header: Depth=2
	s_add_u32 s18, s4, s14
	s_addc_u32 s19, s5, s15
	global_load_ubyte v2, v26, s[18:19]
	s_add_u32 s14, s14, 1
	s_addc_u32 s15, s15, 0
	s_waitcnt vmcnt(0)
	v_and_b32_e32 v25, 0xffff, v2
	v_lshlrev_b64 v[2:3], s12, v[25:26]
	s_add_u32 s12, s12, 8
	s_addc_u32 s13, s13, 0
	v_or_b32_e32 v10, v2, v10
	s_cmp_lg_u32 s16, s14
	v_or_b32_e32 v11, v3, v11
	s_cbranch_scc1 .LBB2_39
	s_branch .LBB2_42
.LBB2_40:                               ;   in Loop: Header=BB2_28 Depth=1
                                        ; implicit-def: $vgpr10_vgpr11
	s_mov_b32 s17, 0
	s_branch .LBB2_43
.LBB2_41:                               ;   in Loop: Header=BB2_28 Depth=1
	v_mov_b32_e32 v10, 0
	v_mov_b32_e32 v11, 0
.LBB2_42:                               ;   in Loop: Header=BB2_28 Depth=1
	s_mov_b64 s[12:13], s[4:5]
	s_mov_b32 s17, 0
	s_cbranch_execnz .LBB2_44
.LBB2_43:                               ;   in Loop: Header=BB2_28 Depth=1
	global_load_dwordx2 v[10:11], v26, s[4:5]
	s_add_i32 s17, s16, -8
.LBB2_44:                               ;   in Loop: Header=BB2_28 Depth=1
	s_add_u32 s4, s12, 8
	s_addc_u32 s5, s13, 0
	s_cmp_gt_u32 s17, 7
	s_cbranch_scc1 .LBB2_48
; %bb.45:                               ;   in Loop: Header=BB2_28 Depth=1
	s_cmp_eq_u32 s17, 0
	s_cbranch_scc1 .LBB2_49
; %bb.46:                               ;   in Loop: Header=BB2_28 Depth=1
	v_mov_b32_e32 v12, 0
	s_mov_b64 s[4:5], 0
	v_mov_b32_e32 v13, 0
	s_mov_b64 s[14:15], 0
.LBB2_47:                               ;   Parent Loop BB2_28 Depth=1
                                        ; =>  This Inner Loop Header: Depth=2
	s_add_u32 s18, s12, s14
	s_addc_u32 s19, s13, s15
	global_load_ubyte v2, v26, s[18:19]
	s_add_u32 s14, s14, 1
	s_addc_u32 s15, s15, 0
	s_waitcnt vmcnt(0)
	v_and_b32_e32 v25, 0xffff, v2
	v_lshlrev_b64 v[2:3], s4, v[25:26]
	s_add_u32 s4, s4, 8
	s_addc_u32 s5, s5, 0
	v_or_b32_e32 v12, v2, v12
	s_cmp_lg_u32 s17, s14
	v_or_b32_e32 v13, v3, v13
	s_cbranch_scc1 .LBB2_47
	s_branch .LBB2_50
.LBB2_48:                               ;   in Loop: Header=BB2_28 Depth=1
	s_mov_b32 s16, 0
	s_branch .LBB2_51
.LBB2_49:                               ;   in Loop: Header=BB2_28 Depth=1
	v_mov_b32_e32 v12, 0
	v_mov_b32_e32 v13, 0
.LBB2_50:                               ;   in Loop: Header=BB2_28 Depth=1
	s_mov_b64 s[4:5], s[12:13]
	s_mov_b32 s16, 0
	s_cbranch_execnz .LBB2_52
.LBB2_51:                               ;   in Loop: Header=BB2_28 Depth=1
	global_load_dwordx2 v[12:13], v26, s[12:13]
	s_add_i32 s16, s17, -8
.LBB2_52:                               ;   in Loop: Header=BB2_28 Depth=1
	s_add_u32 s12, s4, 8
	s_addc_u32 s13, s5, 0
	s_cmp_gt_u32 s16, 7
	s_cbranch_scc1 .LBB2_56
; %bb.53:                               ;   in Loop: Header=BB2_28 Depth=1
	s_cmp_eq_u32 s16, 0
	s_cbranch_scc1 .LBB2_57
; %bb.54:                               ;   in Loop: Header=BB2_28 Depth=1
	v_mov_b32_e32 v14, 0
	s_mov_b64 s[12:13], 0
	v_mov_b32_e32 v15, 0
	s_mov_b64 s[14:15], 0
.LBB2_55:                               ;   Parent Loop BB2_28 Depth=1
                                        ; =>  This Inner Loop Header: Depth=2
	s_add_u32 s18, s4, s14
	s_addc_u32 s19, s5, s15
	global_load_ubyte v2, v26, s[18:19]
	s_add_u32 s14, s14, 1
	s_addc_u32 s15, s15, 0
	s_waitcnt vmcnt(0)
	v_and_b32_e32 v25, 0xffff, v2
	v_lshlrev_b64 v[2:3], s12, v[25:26]
	s_add_u32 s12, s12, 8
	s_addc_u32 s13, s13, 0
	v_or_b32_e32 v14, v2, v14
	s_cmp_lg_u32 s16, s14
	v_or_b32_e32 v15, v3, v15
	s_cbranch_scc1 .LBB2_55
	s_branch .LBB2_58
.LBB2_56:                               ;   in Loop: Header=BB2_28 Depth=1
                                        ; implicit-def: $vgpr14_vgpr15
	s_mov_b32 s17, 0
	s_branch .LBB2_59
.LBB2_57:                               ;   in Loop: Header=BB2_28 Depth=1
	v_mov_b32_e32 v14, 0
	v_mov_b32_e32 v15, 0
.LBB2_58:                               ;   in Loop: Header=BB2_28 Depth=1
	s_mov_b64 s[12:13], s[4:5]
	s_mov_b32 s17, 0
	s_cbranch_execnz .LBB2_60
.LBB2_59:                               ;   in Loop: Header=BB2_28 Depth=1
	global_load_dwordx2 v[14:15], v26, s[4:5]
	s_add_i32 s17, s16, -8
.LBB2_60:                               ;   in Loop: Header=BB2_28 Depth=1
	s_add_u32 s4, s12, 8
	s_addc_u32 s5, s13, 0
	s_cmp_gt_u32 s17, 7
	s_cbranch_scc1 .LBB2_64
; %bb.61:                               ;   in Loop: Header=BB2_28 Depth=1
	s_cmp_eq_u32 s17, 0
	s_cbranch_scc1 .LBB2_65
; %bb.62:                               ;   in Loop: Header=BB2_28 Depth=1
	v_mov_b32_e32 v16, 0
	s_mov_b64 s[4:5], 0
	v_mov_b32_e32 v17, 0
	s_mov_b64 s[14:15], 0
.LBB2_63:                               ;   Parent Loop BB2_28 Depth=1
                                        ; =>  This Inner Loop Header: Depth=2
	s_add_u32 s18, s12, s14
	s_addc_u32 s19, s13, s15
	global_load_ubyte v2, v26, s[18:19]
	s_add_u32 s14, s14, 1
	s_addc_u32 s15, s15, 0
	s_waitcnt vmcnt(0)
	v_and_b32_e32 v25, 0xffff, v2
	v_lshlrev_b64 v[2:3], s4, v[25:26]
	s_add_u32 s4, s4, 8
	s_addc_u32 s5, s5, 0
	v_or_b32_e32 v16, v2, v16
	s_cmp_lg_u32 s17, s14
	v_or_b32_e32 v17, v3, v17
	s_cbranch_scc1 .LBB2_63
	s_branch .LBB2_66
.LBB2_64:                               ;   in Loop: Header=BB2_28 Depth=1
	s_mov_b32 s16, 0
	s_branch .LBB2_67
.LBB2_65:                               ;   in Loop: Header=BB2_28 Depth=1
	v_mov_b32_e32 v16, 0
	v_mov_b32_e32 v17, 0
.LBB2_66:                               ;   in Loop: Header=BB2_28 Depth=1
	s_mov_b64 s[4:5], s[12:13]
	s_mov_b32 s16, 0
	s_cbranch_execnz .LBB2_68
.LBB2_67:                               ;   in Loop: Header=BB2_28 Depth=1
	global_load_dwordx2 v[16:17], v26, s[12:13]
	s_add_i32 s16, s17, -8
.LBB2_68:                               ;   in Loop: Header=BB2_28 Depth=1
	s_add_u32 s12, s4, 8
	s_addc_u32 s13, s5, 0
	s_cmp_gt_u32 s16, 7
	s_cbranch_scc1 .LBB2_72
; %bb.69:                               ;   in Loop: Header=BB2_28 Depth=1
	s_cmp_eq_u32 s16, 0
	s_cbranch_scc1 .LBB2_73
; %bb.70:                               ;   in Loop: Header=BB2_28 Depth=1
	v_mov_b32_e32 v18, 0
	s_mov_b64 s[12:13], 0
	v_mov_b32_e32 v19, 0
	s_mov_b64 s[14:15], 0
.LBB2_71:                               ;   Parent Loop BB2_28 Depth=1
                                        ; =>  This Inner Loop Header: Depth=2
	s_add_u32 s18, s4, s14
	s_addc_u32 s19, s5, s15
	global_load_ubyte v2, v26, s[18:19]
	s_add_u32 s14, s14, 1
	s_addc_u32 s15, s15, 0
	s_waitcnt vmcnt(0)
	v_and_b32_e32 v25, 0xffff, v2
	v_lshlrev_b64 v[2:3], s12, v[25:26]
	s_add_u32 s12, s12, 8
	s_addc_u32 s13, s13, 0
	v_or_b32_e32 v18, v2, v18
	s_cmp_lg_u32 s16, s14
	v_or_b32_e32 v19, v3, v19
	s_cbranch_scc1 .LBB2_71
	s_branch .LBB2_74
.LBB2_72:                               ;   in Loop: Header=BB2_28 Depth=1
                                        ; implicit-def: $vgpr18_vgpr19
	s_mov_b32 s17, 0
	s_branch .LBB2_75
.LBB2_73:                               ;   in Loop: Header=BB2_28 Depth=1
	v_mov_b32_e32 v18, 0
	v_mov_b32_e32 v19, 0
.LBB2_74:                               ;   in Loop: Header=BB2_28 Depth=1
	s_mov_b64 s[12:13], s[4:5]
	s_mov_b32 s17, 0
	s_cbranch_execnz .LBB2_76
.LBB2_75:                               ;   in Loop: Header=BB2_28 Depth=1
	global_load_dwordx2 v[18:19], v26, s[4:5]
	s_add_i32 s17, s16, -8
.LBB2_76:                               ;   in Loop: Header=BB2_28 Depth=1
	s_cmp_gt_u32 s17, 7
	s_cbranch_scc1 .LBB2_80
; %bb.77:                               ;   in Loop: Header=BB2_28 Depth=1
	s_cmp_eq_u32 s17, 0
	s_cbranch_scc1 .LBB2_81
; %bb.78:                               ;   in Loop: Header=BB2_28 Depth=1
	v_mov_b32_e32 v20, 0
	s_mov_b64 s[4:5], 0
	v_mov_b32_e32 v21, 0
	s_mov_b64 s[14:15], s[12:13]
.LBB2_79:                               ;   Parent Loop BB2_28 Depth=1
                                        ; =>  This Inner Loop Header: Depth=2
	global_load_ubyte v2, v26, s[14:15]
	s_add_i32 s17, s17, -1
	s_waitcnt vmcnt(0)
	v_and_b32_e32 v25, 0xffff, v2
	v_lshlrev_b64 v[2:3], s4, v[25:26]
	s_add_u32 s4, s4, 8
	s_addc_u32 s5, s5, 0
	s_add_u32 s14, s14, 1
	s_addc_u32 s15, s15, 0
	v_or_b32_e32 v20, v2, v20
	s_cmp_lg_u32 s17, 0
	v_or_b32_e32 v21, v3, v21
	s_cbranch_scc1 .LBB2_79
	s_branch .LBB2_82
.LBB2_80:                               ;   in Loop: Header=BB2_28 Depth=1
	s_branch .LBB2_83
.LBB2_81:                               ;   in Loop: Header=BB2_28 Depth=1
	v_mov_b32_e32 v20, 0
	v_mov_b32_e32 v21, 0
.LBB2_82:                               ;   in Loop: Header=BB2_28 Depth=1
	s_cbranch_execnz .LBB2_84
.LBB2_83:                               ;   in Loop: Header=BB2_28 Depth=1
	global_load_dwordx2 v[20:21], v26, s[12:13]
.LBB2_84:                               ;   in Loop: Header=BB2_28 Depth=1
	v_readfirstlane_b32 s4, v38
	v_mov_b32_e32 v2, 0
	v_mov_b32_e32 v3, 0
	v_cmp_eq_u32_e64 s[4:5], s4, v38
	s_and_saveexec_b64 s[12:13], s[4:5]
	s_cbranch_execz .LBB2_90
; %bb.85:                               ;   in Loop: Header=BB2_28 Depth=1
	global_load_dwordx2 v[24:25], v26, s[34:35] offset:24 glc
	s_waitcnt vmcnt(0)
	buffer_wbinvl1_vol
	global_load_dwordx2 v[2:3], v26, s[34:35] offset:40
	global_load_dwordx2 v[22:23], v26, s[34:35]
	s_waitcnt vmcnt(1)
	v_and_b32_e32 v2, v2, v24
	v_and_b32_e32 v3, v3, v25
	v_mul_lo_u32 v3, v3, 24
	v_mul_hi_u32 v27, v2, 24
	v_mul_lo_u32 v2, v2, 24
	v_add_u32_e32 v3, v27, v3
	s_waitcnt vmcnt(0)
	v_add_co_u32_e32 v2, vcc, v22, v2
	v_addc_co_u32_e32 v3, vcc, v23, v3, vcc
	global_load_dwordx2 v[22:23], v[2:3], off glc
	s_waitcnt vmcnt(0)
	global_atomic_cmpswap_x2 v[2:3], v26, v[22:25], s[34:35] offset:24 glc
	s_waitcnt vmcnt(0)
	buffer_wbinvl1_vol
	v_cmp_ne_u64_e32 vcc, v[2:3], v[24:25]
	s_and_saveexec_b64 s[14:15], vcc
	s_cbranch_execz .LBB2_89
; %bb.86:                               ;   in Loop: Header=BB2_28 Depth=1
	s_mov_b64 s[16:17], 0
.LBB2_87:                               ;   Parent Loop BB2_28 Depth=1
                                        ; =>  This Inner Loop Header: Depth=2
	s_sleep 1
	global_load_dwordx2 v[22:23], v26, s[34:35] offset:40
	global_load_dwordx2 v[27:28], v26, s[34:35]
	v_mov_b32_e32 v25, v3
	v_mov_b32_e32 v24, v2
	s_waitcnt vmcnt(1)
	v_and_b32_e32 v2, v22, v24
	s_waitcnt vmcnt(0)
	v_mad_u64_u32 v[2:3], s[18:19], v2, 24, v[27:28]
	v_and_b32_e32 v22, v23, v25
	v_mad_u64_u32 v[22:23], s[18:19], v22, 24, v[3:4]
	v_mov_b32_e32 v3, v22
	global_load_dwordx2 v[22:23], v[2:3], off glc
	s_waitcnt vmcnt(0)
	global_atomic_cmpswap_x2 v[2:3], v26, v[22:25], s[34:35] offset:24 glc
	s_waitcnt vmcnt(0)
	buffer_wbinvl1_vol
	v_cmp_eq_u64_e32 vcc, v[2:3], v[24:25]
	s_or_b64 s[16:17], vcc, s[16:17]
	s_andn2_b64 exec, exec, s[16:17]
	s_cbranch_execnz .LBB2_87
; %bb.88:                               ;   in Loop: Header=BB2_28 Depth=1
	s_or_b64 exec, exec, s[16:17]
.LBB2_89:                               ;   in Loop: Header=BB2_28 Depth=1
	s_or_b64 exec, exec, s[14:15]
.LBB2_90:                               ;   in Loop: Header=BB2_28 Depth=1
	s_or_b64 exec, exec, s[12:13]
	global_load_dwordx2 v[27:28], v26, s[34:35] offset:40
	global_load_dwordx4 v[22:25], v26, s[34:35]
	v_readfirstlane_b32 s13, v3
	v_readfirstlane_b32 s12, v2
	s_mov_b64 s[14:15], exec
	s_waitcnt vmcnt(1)
	v_readfirstlane_b32 s16, v27
	v_readfirstlane_b32 s17, v28
	s_and_b64 s[16:17], s[16:17], s[12:13]
	s_mul_i32 s18, s17, 24
	s_mul_hi_u32 s19, s16, 24
	s_mul_i32 s20, s16, 24
	s_add_i32 s18, s19, s18
	v_mov_b32_e32 v2, s18
	s_waitcnt vmcnt(0)
	v_add_co_u32_e32 v27, vcc, s20, v22
	v_addc_co_u32_e32 v28, vcc, v23, v2, vcc
	s_and_saveexec_b64 s[18:19], s[4:5]
	s_cbranch_execz .LBB2_92
; %bb.91:                               ;   in Loop: Header=BB2_28 Depth=1
	v_mov_b32_e32 v2, s14
	v_mov_b32_e32 v3, s15
	global_store_dwordx4 v[27:28], v[2:5], off offset:8
.LBB2_92:                               ;   in Loop: Header=BB2_28 Depth=1
	s_or_b64 exec, exec, s[18:19]
	s_lshl_b64 s[14:15], s[16:17], 12
	v_cmp_gt_u64_e64 s[16:17], s[8:9], 56
	v_mov_b32_e32 v2, s15
	v_add_co_u32_e32 v24, vcc, s14, v24
	s_and_b64 s[14:15], s[16:17], exec
	s_cselect_b32 s14, 0, 2
	s_lshl_b32 s15, s10, 2
	v_addc_co_u32_e32 v29, vcc, v25, v2, vcc
	s_add_i32 s15, s15, 28
	v_and_b32_e32 v2, 0xffffff1f, v6
	s_and_b32 s15, s15, 0x1e0
	v_or_b32_e32 v2, s14, v2
	v_or_b32_e32 v6, s15, v2
	v_readfirstlane_b32 s14, v24
	v_readfirstlane_b32 s15, v29
	s_nop 4
	global_store_dwordx4 v37, v[6:9], s[14:15]
	global_store_dwordx4 v37, v[10:13], s[14:15] offset:16
	global_store_dwordx4 v37, v[14:17], s[14:15] offset:32
	;; [unrolled: 1-line block ×3, first 2 shown]
	s_and_saveexec_b64 s[14:15], s[4:5]
	s_cbranch_execz .LBB2_100
; %bb.93:                               ;   in Loop: Header=BB2_28 Depth=1
	global_load_dwordx2 v[10:11], v26, s[34:35] offset:32 glc
	global_load_dwordx2 v[2:3], v26, s[34:35] offset:40
	v_mov_b32_e32 v8, s12
	v_mov_b32_e32 v9, s13
	s_waitcnt vmcnt(0)
	v_readfirstlane_b32 s16, v2
	v_readfirstlane_b32 s17, v3
	s_and_b64 s[16:17], s[16:17], s[12:13]
	s_mul_i32 s17, s17, 24
	s_mul_hi_u32 s18, s16, 24
	s_mul_i32 s16, s16, 24
	s_add_i32 s17, s18, s17
	v_mov_b32_e32 v3, s17
	v_add_co_u32_e32 v2, vcc, s16, v22
	v_addc_co_u32_e32 v3, vcc, v23, v3, vcc
	global_store_dwordx2 v[2:3], v[10:11], off
	s_waitcnt vmcnt(0)
	global_atomic_cmpswap_x2 v[8:9], v26, v[8:11], s[34:35] offset:32 glc
	s_waitcnt vmcnt(0)
	v_cmp_ne_u64_e32 vcc, v[8:9], v[10:11]
	s_and_saveexec_b64 s[16:17], vcc
	s_cbranch_execz .LBB2_96
; %bb.94:                               ;   in Loop: Header=BB2_28 Depth=1
	s_mov_b64 s[18:19], 0
.LBB2_95:                               ;   Parent Loop BB2_28 Depth=1
                                        ; =>  This Inner Loop Header: Depth=2
	s_sleep 1
	global_store_dwordx2 v[2:3], v[8:9], off
	v_mov_b32_e32 v6, s12
	v_mov_b32_e32 v7, s13
	s_waitcnt vmcnt(0)
	global_atomic_cmpswap_x2 v[6:7], v26, v[6:9], s[34:35] offset:32 glc
	s_waitcnt vmcnt(0)
	v_cmp_eq_u64_e32 vcc, v[6:7], v[8:9]
	v_mov_b32_e32 v9, v7
	s_or_b64 s[18:19], vcc, s[18:19]
	v_mov_b32_e32 v8, v6
	s_andn2_b64 exec, exec, s[18:19]
	s_cbranch_execnz .LBB2_95
.LBB2_96:                               ;   in Loop: Header=BB2_28 Depth=1
	s_or_b64 exec, exec, s[16:17]
	global_load_dwordx2 v[2:3], v26, s[34:35] offset:16
	s_mov_b64 s[18:19], exec
	v_mbcnt_lo_u32_b32 v6, s18, 0
	v_mbcnt_hi_u32_b32 v6, s19, v6
	v_cmp_eq_u32_e32 vcc, 0, v6
	s_and_saveexec_b64 s[16:17], vcc
	s_cbranch_execz .LBB2_98
; %bb.97:                               ;   in Loop: Header=BB2_28 Depth=1
	s_bcnt1_i32_b64 s18, s[18:19]
	v_mov_b32_e32 v25, s18
	s_waitcnt vmcnt(0)
	global_atomic_add_x2 v[2:3], v[25:26], off offset:8
.LBB2_98:                               ;   in Loop: Header=BB2_28 Depth=1
	s_or_b64 exec, exec, s[16:17]
	s_waitcnt vmcnt(0)
	global_load_dwordx2 v[6:7], v[2:3], off offset:16
	s_waitcnt vmcnt(0)
	v_cmp_eq_u64_e32 vcc, 0, v[6:7]
	s_cbranch_vccnz .LBB2_100
; %bb.99:                               ;   in Loop: Header=BB2_28 Depth=1
	global_load_dword v25, v[2:3], off offset:24
	s_waitcnt vmcnt(0)
	v_readfirstlane_b32 s16, v25
	s_and_b32 m0, s16, 0xffffff
	global_store_dwordx2 v[6:7], v[25:26], off
	s_sendmsg sendmsg(MSG_INTERRUPT)
.LBB2_100:                              ;   in Loop: Header=BB2_28 Depth=1
	s_or_b64 exec, exec, s[14:15]
	v_add_co_u32_e32 v2, vcc, v24, v37
	v_addc_co_u32_e32 v3, vcc, 0, v29, vcc
	s_branch .LBB2_104
.LBB2_101:                              ;   in Loop: Header=BB2_104 Depth=2
	s_or_b64 exec, exec, s[14:15]
	v_readfirstlane_b32 s14, v6
	s_cmp_eq_u32 s14, 0
	s_cbranch_scc1 .LBB2_103
; %bb.102:                              ;   in Loop: Header=BB2_104 Depth=2
	s_sleep 1
	s_cbranch_execnz .LBB2_104
	s_branch .LBB2_106
.LBB2_103:                              ;   in Loop: Header=BB2_28 Depth=1
	s_branch .LBB2_106
.LBB2_104:                              ;   Parent Loop BB2_28 Depth=1
                                        ; =>  This Inner Loop Header: Depth=2
	v_mov_b32_e32 v6, 1
	s_and_saveexec_b64 s[14:15], s[4:5]
	s_cbranch_execz .LBB2_101
; %bb.105:                              ;   in Loop: Header=BB2_104 Depth=2
	global_load_dword v6, v[27:28], off offset:20 glc
	s_waitcnt vmcnt(0)
	buffer_wbinvl1_vol
	v_and_b32_e32 v6, 1, v6
	s_branch .LBB2_101
.LBB2_106:                              ;   in Loop: Header=BB2_28 Depth=1
	global_load_dwordx4 v[6:9], v[2:3], off
	s_and_saveexec_b64 s[14:15], s[4:5]
	s_cbranch_execz .LBB2_27
; %bb.107:                              ;   in Loop: Header=BB2_28 Depth=1
	global_load_dwordx2 v[2:3], v26, s[34:35] offset:40
	global_load_dwordx2 v[12:13], v26, s[34:35] offset:24 glc
	global_load_dwordx2 v[8:9], v26, s[34:35]
	s_waitcnt vmcnt(2)
	v_readfirstlane_b32 s16, v2
	v_readfirstlane_b32 s17, v3
	s_add_u32 s18, s16, 1
	s_addc_u32 s19, s17, 0
	s_add_u32 s4, s18, s12
	s_addc_u32 s5, s19, s13
	s_cmp_eq_u64 s[4:5], 0
	s_cselect_b32 s5, s19, s5
	s_cselect_b32 s4, s18, s4
	s_and_b64 s[12:13], s[4:5], s[16:17]
	s_mul_i32 s13, s13, 24
	s_mul_hi_u32 s16, s12, 24
	s_mul_i32 s12, s12, 24
	s_add_i32 s13, s16, s13
	v_mov_b32_e32 v3, s13
	s_waitcnt vmcnt(0)
	v_add_co_u32_e32 v2, vcc, s12, v8
	v_addc_co_u32_e32 v3, vcc, v9, v3, vcc
	v_mov_b32_e32 v10, s4
	global_store_dwordx2 v[2:3], v[12:13], off
	v_mov_b32_e32 v11, s5
	s_waitcnt vmcnt(0)
	global_atomic_cmpswap_x2 v[10:11], v26, v[10:13], s[34:35] offset:24 glc
	s_waitcnt vmcnt(0)
	v_cmp_ne_u64_e32 vcc, v[10:11], v[12:13]
	s_and_b64 exec, exec, vcc
	s_cbranch_execz .LBB2_27
; %bb.108:                              ;   in Loop: Header=BB2_28 Depth=1
	s_mov_b64 s[12:13], 0
.LBB2_109:                              ;   Parent Loop BB2_28 Depth=1
                                        ; =>  This Inner Loop Header: Depth=2
	s_sleep 1
	global_store_dwordx2 v[2:3], v[10:11], off
	v_mov_b32_e32 v8, s4
	v_mov_b32_e32 v9, s5
	s_waitcnt vmcnt(0)
	global_atomic_cmpswap_x2 v[8:9], v26, v[8:11], s[34:35] offset:24 glc
	s_waitcnt vmcnt(0)
	v_cmp_eq_u64_e32 vcc, v[8:9], v[10:11]
	v_mov_b32_e32 v11, v9
	s_or_b64 s[12:13], vcc, s[12:13]
	v_mov_b32_e32 v10, v8
	s_andn2_b64 exec, exec, s[12:13]
	s_cbranch_execnz .LBB2_109
	s_branch .LBB2_27
.LBB2_110:
	s_branch .LBB2_138
.LBB2_111:
	s_cbranch_execz .LBB2_138
; %bb.112:
	v_readfirstlane_b32 s4, v38
	s_waitcnt vmcnt(0)
	v_mov_b32_e32 v8, 0
	v_mov_b32_e32 v9, 0
	v_cmp_eq_u32_e64 s[4:5], s4, v38
	s_and_saveexec_b64 s[6:7], s[4:5]
	s_cbranch_execz .LBB2_118
; %bb.113:
	v_mov_b32_e32 v2, 0
	global_load_dwordx2 v[5:6], v2, s[34:35] offset:24 glc
	s_waitcnt vmcnt(0)
	buffer_wbinvl1_vol
	global_load_dwordx2 v[3:4], v2, s[34:35] offset:40
	global_load_dwordx2 v[7:8], v2, s[34:35]
	s_waitcnt vmcnt(1)
	v_and_b32_e32 v3, v3, v5
	v_and_b32_e32 v4, v4, v6
	v_mul_lo_u32 v4, v4, 24
	v_mul_hi_u32 v9, v3, 24
	v_mul_lo_u32 v3, v3, 24
	v_add_u32_e32 v4, v9, v4
	s_waitcnt vmcnt(0)
	v_add_co_u32_e32 v3, vcc, v7, v3
	v_addc_co_u32_e32 v4, vcc, v8, v4, vcc
	global_load_dwordx2 v[3:4], v[3:4], off glc
	s_waitcnt vmcnt(0)
	global_atomic_cmpswap_x2 v[8:9], v2, v[3:6], s[34:35] offset:24 glc
	s_waitcnt vmcnt(0)
	buffer_wbinvl1_vol
	v_cmp_ne_u64_e32 vcc, v[8:9], v[5:6]
	s_and_saveexec_b64 s[8:9], vcc
	s_cbranch_execz .LBB2_117
; %bb.114:
	s_mov_b64 s[10:11], 0
.LBB2_115:                              ; =>This Inner Loop Header: Depth=1
	s_sleep 1
	global_load_dwordx2 v[3:4], v2, s[34:35] offset:40
	global_load_dwordx2 v[10:11], v2, s[34:35]
	v_mov_b32_e32 v5, v8
	v_mov_b32_e32 v6, v9
	s_waitcnt vmcnt(1)
	v_and_b32_e32 v3, v3, v5
	s_waitcnt vmcnt(0)
	v_mad_u64_u32 v[7:8], s[12:13], v3, 24, v[10:11]
	v_and_b32_e32 v4, v4, v6
	v_mov_b32_e32 v3, v8
	v_mad_u64_u32 v[3:4], s[12:13], v4, 24, v[3:4]
	v_mov_b32_e32 v8, v3
	global_load_dwordx2 v[3:4], v[7:8], off glc
	s_waitcnt vmcnt(0)
	global_atomic_cmpswap_x2 v[8:9], v2, v[3:6], s[34:35] offset:24 glc
	s_waitcnt vmcnt(0)
	buffer_wbinvl1_vol
	v_cmp_eq_u64_e32 vcc, v[8:9], v[5:6]
	s_or_b64 s[10:11], vcc, s[10:11]
	s_andn2_b64 exec, exec, s[10:11]
	s_cbranch_execnz .LBB2_115
; %bb.116:
	s_or_b64 exec, exec, s[10:11]
.LBB2_117:
	s_or_b64 exec, exec, s[8:9]
.LBB2_118:
	s_or_b64 exec, exec, s[6:7]
	v_mov_b32_e32 v2, 0
	global_load_dwordx2 v[10:11], v2, s[34:35] offset:40
	global_load_dwordx4 v[4:7], v2, s[34:35]
	v_readfirstlane_b32 s7, v9
	v_readfirstlane_b32 s6, v8
	s_mov_b64 s[8:9], exec
	s_waitcnt vmcnt(1)
	v_readfirstlane_b32 s10, v10
	v_readfirstlane_b32 s11, v11
	s_and_b64 s[10:11], s[10:11], s[6:7]
	s_mul_i32 s12, s11, 24
	s_mul_hi_u32 s13, s10, 24
	s_mul_i32 s14, s10, 24
	s_add_i32 s12, s13, s12
	v_mov_b32_e32 v3, s12
	s_waitcnt vmcnt(0)
	v_add_co_u32_e32 v8, vcc, s14, v4
	v_addc_co_u32_e32 v9, vcc, v5, v3, vcc
	s_and_saveexec_b64 s[12:13], s[4:5]
	s_cbranch_execz .LBB2_120
; %bb.119:
	v_mov_b32_e32 v11, s9
	v_mov_b32_e32 v10, s8
	;; [unrolled: 1-line block ×4, first 2 shown]
	global_store_dwordx4 v[8:9], v[10:13], off offset:8
.LBB2_120:
	s_or_b64 exec, exec, s[12:13]
	s_lshl_b64 s[8:9], s[10:11], 12
	v_mov_b32_e32 v3, s9
	v_add_co_u32_e32 v6, vcc, s8, v6
	v_addc_co_u32_e32 v7, vcc, v7, v3, vcc
	s_movk_i32 s8, 0xff1d
	v_and_or_b32 v0, v0, s8, 34
	s_mov_b32 s8, 0
	v_mov_b32_e32 v3, v2
	v_readfirstlane_b32 s12, v6
	v_readfirstlane_b32 s13, v7
	s_mov_b32 s9, s8
	s_mov_b32 s10, s8
	;; [unrolled: 1-line block ×3, first 2 shown]
	s_nop 1
	global_store_dwordx4 v37, v[0:3], s[12:13]
	s_nop 0
	v_mov_b32_e32 v0, s8
	v_mov_b32_e32 v1, s9
	;; [unrolled: 1-line block ×4, first 2 shown]
	global_store_dwordx4 v37, v[0:3], s[12:13] offset:16
	global_store_dwordx4 v37, v[0:3], s[12:13] offset:32
	;; [unrolled: 1-line block ×3, first 2 shown]
	s_and_saveexec_b64 s[8:9], s[4:5]
	s_cbranch_execz .LBB2_128
; %bb.121:
	v_mov_b32_e32 v6, 0
	global_load_dwordx2 v[12:13], v6, s[34:35] offset:32 glc
	global_load_dwordx2 v[0:1], v6, s[34:35] offset:40
	v_mov_b32_e32 v10, s6
	v_mov_b32_e32 v11, s7
	s_waitcnt vmcnt(0)
	v_readfirstlane_b32 s10, v0
	v_readfirstlane_b32 s11, v1
	s_and_b64 s[10:11], s[10:11], s[6:7]
	s_mul_i32 s11, s11, 24
	s_mul_hi_u32 s12, s10, 24
	s_mul_i32 s10, s10, 24
	s_add_i32 s11, s12, s11
	v_mov_b32_e32 v0, s11
	v_add_co_u32_e32 v4, vcc, s10, v4
	v_addc_co_u32_e32 v5, vcc, v5, v0, vcc
	global_store_dwordx2 v[4:5], v[12:13], off
	s_waitcnt vmcnt(0)
	global_atomic_cmpswap_x2 v[2:3], v6, v[10:13], s[34:35] offset:32 glc
	s_waitcnt vmcnt(0)
	v_cmp_ne_u64_e32 vcc, v[2:3], v[12:13]
	s_and_saveexec_b64 s[10:11], vcc
	s_cbranch_execz .LBB2_124
; %bb.122:
	s_mov_b64 s[12:13], 0
.LBB2_123:                              ; =>This Inner Loop Header: Depth=1
	s_sleep 1
	global_store_dwordx2 v[4:5], v[2:3], off
	v_mov_b32_e32 v0, s6
	v_mov_b32_e32 v1, s7
	s_waitcnt vmcnt(0)
	global_atomic_cmpswap_x2 v[0:1], v6, v[0:3], s[34:35] offset:32 glc
	s_waitcnt vmcnt(0)
	v_cmp_eq_u64_e32 vcc, v[0:1], v[2:3]
	v_mov_b32_e32 v3, v1
	s_or_b64 s[12:13], vcc, s[12:13]
	v_mov_b32_e32 v2, v0
	s_andn2_b64 exec, exec, s[12:13]
	s_cbranch_execnz .LBB2_123
.LBB2_124:
	s_or_b64 exec, exec, s[10:11]
	v_mov_b32_e32 v3, 0
	global_load_dwordx2 v[0:1], v3, s[34:35] offset:16
	s_mov_b64 s[10:11], exec
	v_mbcnt_lo_u32_b32 v2, s10, 0
	v_mbcnt_hi_u32_b32 v2, s11, v2
	v_cmp_eq_u32_e32 vcc, 0, v2
	s_and_saveexec_b64 s[12:13], vcc
	s_cbranch_execz .LBB2_126
; %bb.125:
	s_bcnt1_i32_b64 s10, s[10:11]
	v_mov_b32_e32 v2, s10
	s_waitcnt vmcnt(0)
	global_atomic_add_x2 v[0:1], v[2:3], off offset:8
.LBB2_126:
	s_or_b64 exec, exec, s[12:13]
	s_waitcnt vmcnt(0)
	global_load_dwordx2 v[2:3], v[0:1], off offset:16
	s_waitcnt vmcnt(0)
	v_cmp_eq_u64_e32 vcc, 0, v[2:3]
	s_cbranch_vccnz .LBB2_128
; %bb.127:
	global_load_dword v0, v[0:1], off offset:24
	v_mov_b32_e32 v1, 0
	s_waitcnt vmcnt(0)
	v_readfirstlane_b32 s10, v0
	s_and_b32 m0, s10, 0xffffff
	global_store_dwordx2 v[2:3], v[0:1], off
	s_sendmsg sendmsg(MSG_INTERRUPT)
.LBB2_128:
	s_or_b64 exec, exec, s[8:9]
	s_branch .LBB2_132
.LBB2_129:                              ;   in Loop: Header=BB2_132 Depth=1
	s_or_b64 exec, exec, s[8:9]
	v_readfirstlane_b32 s8, v0
	s_cmp_eq_u32 s8, 0
	s_cbranch_scc1 .LBB2_131
; %bb.130:                              ;   in Loop: Header=BB2_132 Depth=1
	s_sleep 1
	s_cbranch_execnz .LBB2_132
	s_branch .LBB2_134
.LBB2_131:
	s_branch .LBB2_134
.LBB2_132:                              ; =>This Inner Loop Header: Depth=1
	v_mov_b32_e32 v0, 1
	s_and_saveexec_b64 s[8:9], s[4:5]
	s_cbranch_execz .LBB2_129
; %bb.133:                              ;   in Loop: Header=BB2_132 Depth=1
	global_load_dword v0, v[8:9], off offset:20 glc
	s_waitcnt vmcnt(0)
	buffer_wbinvl1_vol
	v_and_b32_e32 v0, 1, v0
	s_branch .LBB2_129
.LBB2_134:
	s_and_saveexec_b64 s[8:9], s[4:5]
	s_cbranch_execz .LBB2_137
; %bb.135:
	v_mov_b32_e32 v6, 0
	global_load_dwordx2 v[0:1], v6, s[34:35] offset:40
	global_load_dwordx2 v[9:10], v6, s[34:35] offset:24 glc
	global_load_dwordx2 v[2:3], v6, s[34:35]
	s_waitcnt vmcnt(2)
	v_readfirstlane_b32 s10, v0
	v_readfirstlane_b32 s11, v1
	s_add_u32 s12, s10, 1
	s_addc_u32 s13, s11, 0
	s_add_u32 s4, s12, s6
	s_addc_u32 s5, s13, s7
	s_cmp_eq_u64 s[4:5], 0
	s_cselect_b32 s5, s13, s5
	s_cselect_b32 s4, s12, s4
	s_and_b64 s[6:7], s[4:5], s[10:11]
	s_mul_i32 s7, s7, 24
	s_mul_hi_u32 s10, s6, 24
	s_mul_i32 s6, s6, 24
	s_add_i32 s7, s10, s7
	v_mov_b32_e32 v0, s7
	s_waitcnt vmcnt(0)
	v_add_co_u32_e32 v4, vcc, s6, v2
	v_addc_co_u32_e32 v5, vcc, v3, v0, vcc
	v_mov_b32_e32 v7, s4
	global_store_dwordx2 v[4:5], v[9:10], off
	v_mov_b32_e32 v8, s5
	s_waitcnt vmcnt(0)
	global_atomic_cmpswap_x2 v[2:3], v6, v[7:10], s[34:35] offset:24 glc
	s_mov_b64 s[6:7], 0
	s_waitcnt vmcnt(0)
	v_cmp_ne_u64_e32 vcc, v[2:3], v[9:10]
	s_and_b64 exec, exec, vcc
	s_cbranch_execz .LBB2_137
.LBB2_136:                              ; =>This Inner Loop Header: Depth=1
	s_sleep 1
	global_store_dwordx2 v[4:5], v[2:3], off
	v_mov_b32_e32 v0, s4
	v_mov_b32_e32 v1, s5
	s_waitcnt vmcnt(0)
	global_atomic_cmpswap_x2 v[0:1], v6, v[0:3], s[34:35] offset:24 glc
	s_waitcnt vmcnt(0)
	v_cmp_eq_u64_e32 vcc, v[0:1], v[2:3]
	v_mov_b32_e32 v3, v1
	s_or_b64 s[6:7], vcc, s[6:7]
	v_mov_b32_e32 v2, v0
	s_andn2_b64 exec, exec, s[6:7]
	s_cbranch_execnz .LBB2_136
.LBB2_137:
	s_or_b64 exec, exec, s[8:9]
.LBB2_138:
	v_readfirstlane_b32 s4, v38
	s_waitcnt vmcnt(0)
	v_mov_b32_e32 v5, 0
	v_mov_b32_e32 v6, 0
	v_cmp_eq_u32_e64 s[4:5], s4, v38
	s_and_saveexec_b64 s[6:7], s[4:5]
	s_cbranch_execz .LBB2_144
; %bb.139:
	v_mov_b32_e32 v0, 0
	global_load_dwordx2 v[3:4], v0, s[34:35] offset:24 glc
	s_waitcnt vmcnt(0)
	buffer_wbinvl1_vol
	global_load_dwordx2 v[1:2], v0, s[34:35] offset:40
	global_load_dwordx2 v[5:6], v0, s[34:35]
	s_waitcnt vmcnt(1)
	v_and_b32_e32 v1, v1, v3
	v_and_b32_e32 v2, v2, v4
	v_mul_lo_u32 v2, v2, 24
	v_mul_hi_u32 v7, v1, 24
	v_mul_lo_u32 v1, v1, 24
	v_add_u32_e32 v2, v7, v2
	s_waitcnt vmcnt(0)
	v_add_co_u32_e32 v1, vcc, v5, v1
	v_addc_co_u32_e32 v2, vcc, v6, v2, vcc
	global_load_dwordx2 v[1:2], v[1:2], off glc
	s_waitcnt vmcnt(0)
	global_atomic_cmpswap_x2 v[5:6], v0, v[1:4], s[34:35] offset:24 glc
	s_waitcnt vmcnt(0)
	buffer_wbinvl1_vol
	v_cmp_ne_u64_e32 vcc, v[5:6], v[3:4]
	s_and_saveexec_b64 s[8:9], vcc
	s_cbranch_execz .LBB2_143
; %bb.140:
	s_mov_b64 s[10:11], 0
.LBB2_141:                              ; =>This Inner Loop Header: Depth=1
	s_sleep 1
	global_load_dwordx2 v[1:2], v0, s[34:35] offset:40
	global_load_dwordx2 v[7:8], v0, s[34:35]
	v_mov_b32_e32 v3, v5
	v_mov_b32_e32 v4, v6
	s_waitcnt vmcnt(1)
	v_and_b32_e32 v1, v1, v3
	s_waitcnt vmcnt(0)
	v_mad_u64_u32 v[5:6], s[12:13], v1, 24, v[7:8]
	v_and_b32_e32 v2, v2, v4
	v_mov_b32_e32 v1, v6
	v_mad_u64_u32 v[1:2], s[12:13], v2, 24, v[1:2]
	v_mov_b32_e32 v6, v1
	global_load_dwordx2 v[1:2], v[5:6], off glc
	s_waitcnt vmcnt(0)
	global_atomic_cmpswap_x2 v[5:6], v0, v[1:4], s[34:35] offset:24 glc
	s_waitcnt vmcnt(0)
	buffer_wbinvl1_vol
	v_cmp_eq_u64_e32 vcc, v[5:6], v[3:4]
	s_or_b64 s[10:11], vcc, s[10:11]
	s_andn2_b64 exec, exec, s[10:11]
	s_cbranch_execnz .LBB2_141
; %bb.142:
	s_or_b64 exec, exec, s[10:11]
.LBB2_143:
	s_or_b64 exec, exec, s[8:9]
.LBB2_144:
	s_or_b64 exec, exec, s[6:7]
	v_mov_b32_e32 v4, 0
	global_load_dwordx2 v[7:8], v4, s[34:35] offset:40
	global_load_dwordx4 v[0:3], v4, s[34:35]
	v_readfirstlane_b32 s7, v6
	v_readfirstlane_b32 s6, v5
	s_mov_b64 s[8:9], exec
	s_waitcnt vmcnt(1)
	v_readfirstlane_b32 s10, v7
	v_readfirstlane_b32 s11, v8
	s_and_b64 s[10:11], s[10:11], s[6:7]
	s_mul_i32 s12, s11, 24
	s_mul_hi_u32 s13, s10, 24
	s_mul_i32 s14, s10, 24
	s_add_i32 s12, s13, s12
	v_mov_b32_e32 v5, s12
	s_waitcnt vmcnt(0)
	v_add_co_u32_e32 v7, vcc, s14, v0
	v_addc_co_u32_e32 v8, vcc, v1, v5, vcc
	s_and_saveexec_b64 s[12:13], s[4:5]
	s_cbranch_execz .LBB2_146
; %bb.145:
	v_mov_b32_e32 v10, s9
	v_mov_b32_e32 v9, s8
	;; [unrolled: 1-line block ×4, first 2 shown]
	global_store_dwordx4 v[7:8], v[9:12], off offset:8
.LBB2_146:
	s_or_b64 exec, exec, s[12:13]
	s_lshl_b64 s[8:9], s[10:11], 12
	v_mov_b32_e32 v5, s9
	v_add_co_u32_e32 v2, vcc, s8, v2
	v_addc_co_u32_e32 v11, vcc, v3, v5, vcc
	s_mov_b32 s8, 0
	v_mov_b32_e32 v3, 33
	v_mov_b32_e32 v5, v4
	;; [unrolled: 1-line block ×3, first 2 shown]
	v_readfirstlane_b32 s12, v2
	v_readfirstlane_b32 s13, v11
	v_add_co_u32_e32 v9, vcc, v2, v37
	s_mov_b32 s9, s8
	s_mov_b32 s10, s8
	s_mov_b32 s11, s8
	s_nop 0
	global_store_dwordx4 v37, v[3:6], s[12:13]
	v_mov_b32_e32 v2, s8
	v_addc_co_u32_e32 v10, vcc, 0, v11, vcc
	v_mov_b32_e32 v3, s9
	v_mov_b32_e32 v4, s10
	;; [unrolled: 1-line block ×3, first 2 shown]
	global_store_dwordx4 v37, v[2:5], s[12:13] offset:16
	global_store_dwordx4 v37, v[2:5], s[12:13] offset:32
	;; [unrolled: 1-line block ×3, first 2 shown]
	s_and_saveexec_b64 s[8:9], s[4:5]
	s_cbranch_execz .LBB2_154
; %bb.147:
	v_mov_b32_e32 v6, 0
	global_load_dwordx2 v[13:14], v6, s[34:35] offset:32 glc
	global_load_dwordx2 v[2:3], v6, s[34:35] offset:40
	v_mov_b32_e32 v11, s6
	v_mov_b32_e32 v12, s7
	s_waitcnt vmcnt(0)
	v_readfirstlane_b32 s10, v2
	v_readfirstlane_b32 s11, v3
	s_and_b64 s[10:11], s[10:11], s[6:7]
	s_mul_i32 s11, s11, 24
	s_mul_hi_u32 s12, s10, 24
	s_mul_i32 s10, s10, 24
	s_add_i32 s11, s12, s11
	v_mov_b32_e32 v2, s11
	v_add_co_u32_e32 v4, vcc, s10, v0
	v_addc_co_u32_e32 v5, vcc, v1, v2, vcc
	global_store_dwordx2 v[4:5], v[13:14], off
	s_waitcnt vmcnt(0)
	global_atomic_cmpswap_x2 v[2:3], v6, v[11:14], s[34:35] offset:32 glc
	s_waitcnt vmcnt(0)
	v_cmp_ne_u64_e32 vcc, v[2:3], v[13:14]
	s_and_saveexec_b64 s[10:11], vcc
	s_cbranch_execz .LBB2_150
; %bb.148:
	s_mov_b64 s[12:13], 0
.LBB2_149:                              ; =>This Inner Loop Header: Depth=1
	s_sleep 1
	global_store_dwordx2 v[4:5], v[2:3], off
	v_mov_b32_e32 v0, s6
	v_mov_b32_e32 v1, s7
	s_waitcnt vmcnt(0)
	global_atomic_cmpswap_x2 v[0:1], v6, v[0:3], s[34:35] offset:32 glc
	s_waitcnt vmcnt(0)
	v_cmp_eq_u64_e32 vcc, v[0:1], v[2:3]
	v_mov_b32_e32 v3, v1
	s_or_b64 s[12:13], vcc, s[12:13]
	v_mov_b32_e32 v2, v0
	s_andn2_b64 exec, exec, s[12:13]
	s_cbranch_execnz .LBB2_149
.LBB2_150:
	s_or_b64 exec, exec, s[10:11]
	v_mov_b32_e32 v3, 0
	global_load_dwordx2 v[0:1], v3, s[34:35] offset:16
	s_mov_b64 s[10:11], exec
	v_mbcnt_lo_u32_b32 v2, s10, 0
	v_mbcnt_hi_u32_b32 v2, s11, v2
	v_cmp_eq_u32_e32 vcc, 0, v2
	s_and_saveexec_b64 s[12:13], vcc
	s_cbranch_execz .LBB2_152
; %bb.151:
	s_bcnt1_i32_b64 s10, s[10:11]
	v_mov_b32_e32 v2, s10
	s_waitcnt vmcnt(0)
	global_atomic_add_x2 v[0:1], v[2:3], off offset:8
.LBB2_152:
	s_or_b64 exec, exec, s[12:13]
	s_waitcnt vmcnt(0)
	global_load_dwordx2 v[2:3], v[0:1], off offset:16
	s_waitcnt vmcnt(0)
	v_cmp_eq_u64_e32 vcc, 0, v[2:3]
	s_cbranch_vccnz .LBB2_154
; %bb.153:
	global_load_dword v0, v[0:1], off offset:24
	v_mov_b32_e32 v1, 0
	s_waitcnt vmcnt(0)
	v_readfirstlane_b32 s10, v0
	s_and_b32 m0, s10, 0xffffff
	global_store_dwordx2 v[2:3], v[0:1], off
	s_sendmsg sendmsg(MSG_INTERRUPT)
.LBB2_154:
	s_or_b64 exec, exec, s[8:9]
	s_branch .LBB2_158
.LBB2_155:                              ;   in Loop: Header=BB2_158 Depth=1
	s_or_b64 exec, exec, s[8:9]
	v_readfirstlane_b32 s8, v0
	s_cmp_eq_u32 s8, 0
	s_cbranch_scc1 .LBB2_157
; %bb.156:                              ;   in Loop: Header=BB2_158 Depth=1
	s_sleep 1
	s_cbranch_execnz .LBB2_158
	s_branch .LBB2_160
.LBB2_157:
	s_branch .LBB2_160
.LBB2_158:                              ; =>This Inner Loop Header: Depth=1
	v_mov_b32_e32 v0, 1
	s_and_saveexec_b64 s[8:9], s[4:5]
	s_cbranch_execz .LBB2_155
; %bb.159:                              ;   in Loop: Header=BB2_158 Depth=1
	global_load_dword v0, v[7:8], off offset:20 glc
	s_waitcnt vmcnt(0)
	buffer_wbinvl1_vol
	v_and_b32_e32 v0, 1, v0
	s_branch .LBB2_155
.LBB2_160:
	global_load_dwordx2 v[0:1], v[9:10], off
	s_and_saveexec_b64 s[8:9], s[4:5]
	s_cbranch_execz .LBB2_163
; %bb.161:
	v_mov_b32_e32 v8, 0
	global_load_dwordx2 v[2:3], v8, s[34:35] offset:40
	global_load_dwordx2 v[11:12], v8, s[34:35] offset:24 glc
	global_load_dwordx2 v[4:5], v8, s[34:35]
	s_waitcnt vmcnt(2)
	v_readfirstlane_b32 s10, v2
	v_readfirstlane_b32 s11, v3
	s_add_u32 s12, s10, 1
	s_addc_u32 s13, s11, 0
	s_add_u32 s4, s12, s6
	s_addc_u32 s5, s13, s7
	s_cmp_eq_u64 s[4:5], 0
	s_cselect_b32 s5, s13, s5
	s_cselect_b32 s4, s12, s4
	s_and_b64 s[6:7], s[4:5], s[10:11]
	s_mul_i32 s7, s7, 24
	s_mul_hi_u32 s10, s6, 24
	s_mul_i32 s6, s6, 24
	s_add_i32 s7, s10, s7
	v_mov_b32_e32 v2, s7
	s_waitcnt vmcnt(0)
	v_add_co_u32_e32 v6, vcc, s6, v4
	v_addc_co_u32_e32 v7, vcc, v5, v2, vcc
	v_mov_b32_e32 v9, s4
	global_store_dwordx2 v[6:7], v[11:12], off
	v_mov_b32_e32 v10, s5
	s_waitcnt vmcnt(0)
	global_atomic_cmpswap_x2 v[4:5], v8, v[9:12], s[34:35] offset:24 glc
	s_mov_b64 s[6:7], 0
	s_waitcnt vmcnt(0)
	v_cmp_ne_u64_e32 vcc, v[4:5], v[11:12]
	s_and_b64 exec, exec, vcc
	s_cbranch_execz .LBB2_163
.LBB2_162:                              ; =>This Inner Loop Header: Depth=1
	s_sleep 1
	global_store_dwordx2 v[6:7], v[4:5], off
	v_mov_b32_e32 v2, s4
	v_mov_b32_e32 v3, s5
	s_waitcnt vmcnt(0)
	global_atomic_cmpswap_x2 v[2:3], v8, v[2:5], s[34:35] offset:24 glc
	s_waitcnt vmcnt(0)
	v_cmp_eq_u64_e32 vcc, v[2:3], v[4:5]
	v_mov_b32_e32 v5, v3
	s_or_b64 s[6:7], vcc, s[6:7]
	v_mov_b32_e32 v4, v2
	s_andn2_b64 exec, exec, s[6:7]
	s_cbranch_execnz .LBB2_162
.LBB2_163:
	s_or_b64 exec, exec, s[8:9]
	s_getpc_b64 s[6:7]
	s_add_u32 s6, s6, .str@rel32@lo+4
	s_addc_u32 s7, s7, .str@rel32@hi+12
	s_cmp_lg_u64 s[6:7], 0
	s_cbranch_scc0 .LBB2_250
; %bb.164:
	s_waitcnt vmcnt(0)
	v_and_b32_e32 v6, -3, v0
	v_mov_b32_e32 v7, v1
	s_mov_b64 s[8:9], 18
	v_mov_b32_e32 v26, 0
	v_mov_b32_e32 v4, 2
	;; [unrolled: 1-line block ×3, first 2 shown]
	s_branch .LBB2_166
.LBB2_165:                              ;   in Loop: Header=BB2_166 Depth=1
	s_or_b64 exec, exec, s[14:15]
	s_sub_u32 s8, s8, s10
	s_subb_u32 s9, s9, s11
	s_add_u32 s6, s6, s10
	s_addc_u32 s7, s7, s11
	s_cmp_lg_u64 s[8:9], 0
	s_cbranch_scc0 .LBB2_248
.LBB2_166:                              ; =>This Loop Header: Depth=1
                                        ;     Child Loop BB2_169 Depth 2
                                        ;     Child Loop BB2_177 Depth 2
	;; [unrolled: 1-line block ×11, first 2 shown]
	v_cmp_lt_u64_e64 s[4:5], s[8:9], 56
	v_cmp_gt_u64_e64 s[12:13], s[8:9], 7
	s_and_b64 s[4:5], s[4:5], exec
	s_cselect_b32 s11, s9, 0
	s_cselect_b32 s10, s8, 56
	s_add_u32 s4, s6, 8
	s_addc_u32 s5, s7, 0
	s_and_b64 vcc, exec, s[12:13]
	s_cbranch_vccnz .LBB2_170
; %bb.167:                              ;   in Loop: Header=BB2_166 Depth=1
	s_cmp_eq_u64 s[8:9], 0
	s_cbranch_scc1 .LBB2_171
; %bb.168:                              ;   in Loop: Header=BB2_166 Depth=1
	s_waitcnt vmcnt(0)
	v_mov_b32_e32 v8, 0
	s_lshl_b64 s[4:5], s[10:11], 3
	s_mov_b64 s[12:13], 0
	v_mov_b32_e32 v9, 0
	s_mov_b64 s[14:15], s[6:7]
.LBB2_169:                              ;   Parent Loop BB2_166 Depth=1
                                        ; =>  This Inner Loop Header: Depth=2
	global_load_ubyte v2, v26, s[14:15]
	s_waitcnt vmcnt(0)
	v_and_b32_e32 v25, 0xffff, v2
	v_lshlrev_b64 v[2:3], s12, v[25:26]
	s_add_u32 s12, s12, 8
	s_addc_u32 s13, s13, 0
	s_add_u32 s14, s14, 1
	s_addc_u32 s15, s15, 0
	v_or_b32_e32 v8, v2, v8
	s_cmp_lg_u32 s4, s12
	v_or_b32_e32 v9, v3, v9
	s_cbranch_scc1 .LBB2_169
	s_branch .LBB2_172
.LBB2_170:                              ;   in Loop: Header=BB2_166 Depth=1
	s_mov_b32 s16, 0
	s_branch .LBB2_173
.LBB2_171:                              ;   in Loop: Header=BB2_166 Depth=1
	s_waitcnt vmcnt(0)
	v_mov_b32_e32 v8, 0
	v_mov_b32_e32 v9, 0
.LBB2_172:                              ;   in Loop: Header=BB2_166 Depth=1
	s_mov_b64 s[4:5], s[6:7]
	s_mov_b32 s16, 0
	s_cbranch_execnz .LBB2_174
.LBB2_173:                              ;   in Loop: Header=BB2_166 Depth=1
	global_load_dwordx2 v[8:9], v26, s[6:7]
	s_add_i32 s16, s10, -8
.LBB2_174:                              ;   in Loop: Header=BB2_166 Depth=1
	s_add_u32 s12, s4, 8
	s_addc_u32 s13, s5, 0
	s_cmp_gt_u32 s16, 7
	s_cbranch_scc1 .LBB2_178
; %bb.175:                              ;   in Loop: Header=BB2_166 Depth=1
	s_cmp_eq_u32 s16, 0
	s_cbranch_scc1 .LBB2_179
; %bb.176:                              ;   in Loop: Header=BB2_166 Depth=1
	v_mov_b32_e32 v10, 0
	s_mov_b64 s[12:13], 0
	v_mov_b32_e32 v11, 0
	s_mov_b64 s[14:15], 0
.LBB2_177:                              ;   Parent Loop BB2_166 Depth=1
                                        ; =>  This Inner Loop Header: Depth=2
	s_add_u32 s18, s4, s14
	s_addc_u32 s19, s5, s15
	global_load_ubyte v2, v26, s[18:19]
	s_add_u32 s14, s14, 1
	s_addc_u32 s15, s15, 0
	s_waitcnt vmcnt(0)
	v_and_b32_e32 v25, 0xffff, v2
	v_lshlrev_b64 v[2:3], s12, v[25:26]
	s_add_u32 s12, s12, 8
	s_addc_u32 s13, s13, 0
	v_or_b32_e32 v10, v2, v10
	s_cmp_lg_u32 s16, s14
	v_or_b32_e32 v11, v3, v11
	s_cbranch_scc1 .LBB2_177
	s_branch .LBB2_180
.LBB2_178:                              ;   in Loop: Header=BB2_166 Depth=1
                                        ; implicit-def: $vgpr10_vgpr11
	s_mov_b32 s17, 0
	s_branch .LBB2_181
.LBB2_179:                              ;   in Loop: Header=BB2_166 Depth=1
	v_mov_b32_e32 v10, 0
	v_mov_b32_e32 v11, 0
.LBB2_180:                              ;   in Loop: Header=BB2_166 Depth=1
	s_mov_b64 s[12:13], s[4:5]
	s_mov_b32 s17, 0
	s_cbranch_execnz .LBB2_182
.LBB2_181:                              ;   in Loop: Header=BB2_166 Depth=1
	global_load_dwordx2 v[10:11], v26, s[4:5]
	s_add_i32 s17, s16, -8
.LBB2_182:                              ;   in Loop: Header=BB2_166 Depth=1
	s_add_u32 s4, s12, 8
	s_addc_u32 s5, s13, 0
	s_cmp_gt_u32 s17, 7
	s_cbranch_scc1 .LBB2_186
; %bb.183:                              ;   in Loop: Header=BB2_166 Depth=1
	s_cmp_eq_u32 s17, 0
	s_cbranch_scc1 .LBB2_187
; %bb.184:                              ;   in Loop: Header=BB2_166 Depth=1
	v_mov_b32_e32 v12, 0
	s_mov_b64 s[4:5], 0
	v_mov_b32_e32 v13, 0
	s_mov_b64 s[14:15], 0
.LBB2_185:                              ;   Parent Loop BB2_166 Depth=1
                                        ; =>  This Inner Loop Header: Depth=2
	s_add_u32 s18, s12, s14
	s_addc_u32 s19, s13, s15
	global_load_ubyte v2, v26, s[18:19]
	s_add_u32 s14, s14, 1
	s_addc_u32 s15, s15, 0
	s_waitcnt vmcnt(0)
	v_and_b32_e32 v25, 0xffff, v2
	v_lshlrev_b64 v[2:3], s4, v[25:26]
	s_add_u32 s4, s4, 8
	s_addc_u32 s5, s5, 0
	v_or_b32_e32 v12, v2, v12
	s_cmp_lg_u32 s17, s14
	v_or_b32_e32 v13, v3, v13
	s_cbranch_scc1 .LBB2_185
	s_branch .LBB2_188
.LBB2_186:                              ;   in Loop: Header=BB2_166 Depth=1
	s_mov_b32 s16, 0
	s_branch .LBB2_189
.LBB2_187:                              ;   in Loop: Header=BB2_166 Depth=1
	v_mov_b32_e32 v12, 0
	v_mov_b32_e32 v13, 0
.LBB2_188:                              ;   in Loop: Header=BB2_166 Depth=1
	s_mov_b64 s[4:5], s[12:13]
	s_mov_b32 s16, 0
	s_cbranch_execnz .LBB2_190
.LBB2_189:                              ;   in Loop: Header=BB2_166 Depth=1
	global_load_dwordx2 v[12:13], v26, s[12:13]
	s_add_i32 s16, s17, -8
.LBB2_190:                              ;   in Loop: Header=BB2_166 Depth=1
	s_add_u32 s12, s4, 8
	s_addc_u32 s13, s5, 0
	s_cmp_gt_u32 s16, 7
	s_cbranch_scc1 .LBB2_194
; %bb.191:                              ;   in Loop: Header=BB2_166 Depth=1
	s_cmp_eq_u32 s16, 0
	s_cbranch_scc1 .LBB2_195
; %bb.192:                              ;   in Loop: Header=BB2_166 Depth=1
	v_mov_b32_e32 v14, 0
	s_mov_b64 s[12:13], 0
	v_mov_b32_e32 v15, 0
	s_mov_b64 s[14:15], 0
.LBB2_193:                              ;   Parent Loop BB2_166 Depth=1
                                        ; =>  This Inner Loop Header: Depth=2
	s_add_u32 s18, s4, s14
	s_addc_u32 s19, s5, s15
	global_load_ubyte v2, v26, s[18:19]
	s_add_u32 s14, s14, 1
	s_addc_u32 s15, s15, 0
	s_waitcnt vmcnt(0)
	v_and_b32_e32 v25, 0xffff, v2
	v_lshlrev_b64 v[2:3], s12, v[25:26]
	s_add_u32 s12, s12, 8
	s_addc_u32 s13, s13, 0
	v_or_b32_e32 v14, v2, v14
	s_cmp_lg_u32 s16, s14
	v_or_b32_e32 v15, v3, v15
	s_cbranch_scc1 .LBB2_193
	s_branch .LBB2_196
.LBB2_194:                              ;   in Loop: Header=BB2_166 Depth=1
                                        ; implicit-def: $vgpr14_vgpr15
	s_mov_b32 s17, 0
	s_branch .LBB2_197
.LBB2_195:                              ;   in Loop: Header=BB2_166 Depth=1
	v_mov_b32_e32 v14, 0
	v_mov_b32_e32 v15, 0
.LBB2_196:                              ;   in Loop: Header=BB2_166 Depth=1
	s_mov_b64 s[12:13], s[4:5]
	s_mov_b32 s17, 0
	s_cbranch_execnz .LBB2_198
.LBB2_197:                              ;   in Loop: Header=BB2_166 Depth=1
	global_load_dwordx2 v[14:15], v26, s[4:5]
	s_add_i32 s17, s16, -8
.LBB2_198:                              ;   in Loop: Header=BB2_166 Depth=1
	s_add_u32 s4, s12, 8
	s_addc_u32 s5, s13, 0
	s_cmp_gt_u32 s17, 7
	s_cbranch_scc1 .LBB2_202
; %bb.199:                              ;   in Loop: Header=BB2_166 Depth=1
	s_cmp_eq_u32 s17, 0
	s_cbranch_scc1 .LBB2_203
; %bb.200:                              ;   in Loop: Header=BB2_166 Depth=1
	v_mov_b32_e32 v16, 0
	s_mov_b64 s[4:5], 0
	v_mov_b32_e32 v17, 0
	s_mov_b64 s[14:15], 0
.LBB2_201:                              ;   Parent Loop BB2_166 Depth=1
                                        ; =>  This Inner Loop Header: Depth=2
	s_add_u32 s18, s12, s14
	s_addc_u32 s19, s13, s15
	global_load_ubyte v2, v26, s[18:19]
	s_add_u32 s14, s14, 1
	s_addc_u32 s15, s15, 0
	s_waitcnt vmcnt(0)
	v_and_b32_e32 v25, 0xffff, v2
	v_lshlrev_b64 v[2:3], s4, v[25:26]
	s_add_u32 s4, s4, 8
	s_addc_u32 s5, s5, 0
	v_or_b32_e32 v16, v2, v16
	s_cmp_lg_u32 s17, s14
	v_or_b32_e32 v17, v3, v17
	s_cbranch_scc1 .LBB2_201
	s_branch .LBB2_204
.LBB2_202:                              ;   in Loop: Header=BB2_166 Depth=1
	s_mov_b32 s16, 0
	s_branch .LBB2_205
.LBB2_203:                              ;   in Loop: Header=BB2_166 Depth=1
	v_mov_b32_e32 v16, 0
	v_mov_b32_e32 v17, 0
.LBB2_204:                              ;   in Loop: Header=BB2_166 Depth=1
	s_mov_b64 s[4:5], s[12:13]
	s_mov_b32 s16, 0
	s_cbranch_execnz .LBB2_206
.LBB2_205:                              ;   in Loop: Header=BB2_166 Depth=1
	global_load_dwordx2 v[16:17], v26, s[12:13]
	s_add_i32 s16, s17, -8
.LBB2_206:                              ;   in Loop: Header=BB2_166 Depth=1
	s_add_u32 s12, s4, 8
	s_addc_u32 s13, s5, 0
	s_cmp_gt_u32 s16, 7
	s_cbranch_scc1 .LBB2_210
; %bb.207:                              ;   in Loop: Header=BB2_166 Depth=1
	s_cmp_eq_u32 s16, 0
	s_cbranch_scc1 .LBB2_211
; %bb.208:                              ;   in Loop: Header=BB2_166 Depth=1
	v_mov_b32_e32 v18, 0
	s_mov_b64 s[12:13], 0
	v_mov_b32_e32 v19, 0
	s_mov_b64 s[14:15], 0
.LBB2_209:                              ;   Parent Loop BB2_166 Depth=1
                                        ; =>  This Inner Loop Header: Depth=2
	s_add_u32 s18, s4, s14
	s_addc_u32 s19, s5, s15
	global_load_ubyte v2, v26, s[18:19]
	s_add_u32 s14, s14, 1
	s_addc_u32 s15, s15, 0
	s_waitcnt vmcnt(0)
	v_and_b32_e32 v25, 0xffff, v2
	v_lshlrev_b64 v[2:3], s12, v[25:26]
	s_add_u32 s12, s12, 8
	s_addc_u32 s13, s13, 0
	v_or_b32_e32 v18, v2, v18
	s_cmp_lg_u32 s16, s14
	v_or_b32_e32 v19, v3, v19
	s_cbranch_scc1 .LBB2_209
	s_branch .LBB2_212
.LBB2_210:                              ;   in Loop: Header=BB2_166 Depth=1
                                        ; implicit-def: $vgpr18_vgpr19
	s_mov_b32 s17, 0
	s_branch .LBB2_213
.LBB2_211:                              ;   in Loop: Header=BB2_166 Depth=1
	v_mov_b32_e32 v18, 0
	v_mov_b32_e32 v19, 0
.LBB2_212:                              ;   in Loop: Header=BB2_166 Depth=1
	s_mov_b64 s[12:13], s[4:5]
	s_mov_b32 s17, 0
	s_cbranch_execnz .LBB2_214
.LBB2_213:                              ;   in Loop: Header=BB2_166 Depth=1
	global_load_dwordx2 v[18:19], v26, s[4:5]
	s_add_i32 s17, s16, -8
.LBB2_214:                              ;   in Loop: Header=BB2_166 Depth=1
	s_cmp_gt_u32 s17, 7
	s_cbranch_scc1 .LBB2_218
; %bb.215:                              ;   in Loop: Header=BB2_166 Depth=1
	s_cmp_eq_u32 s17, 0
	s_cbranch_scc1 .LBB2_219
; %bb.216:                              ;   in Loop: Header=BB2_166 Depth=1
	v_mov_b32_e32 v20, 0
	s_mov_b64 s[4:5], 0
	v_mov_b32_e32 v21, 0
	s_mov_b64 s[14:15], s[12:13]
.LBB2_217:                              ;   Parent Loop BB2_166 Depth=1
                                        ; =>  This Inner Loop Header: Depth=2
	global_load_ubyte v2, v26, s[14:15]
	s_add_i32 s17, s17, -1
	s_waitcnt vmcnt(0)
	v_and_b32_e32 v25, 0xffff, v2
	v_lshlrev_b64 v[2:3], s4, v[25:26]
	s_add_u32 s4, s4, 8
	s_addc_u32 s5, s5, 0
	s_add_u32 s14, s14, 1
	s_addc_u32 s15, s15, 0
	v_or_b32_e32 v20, v2, v20
	s_cmp_lg_u32 s17, 0
	v_or_b32_e32 v21, v3, v21
	s_cbranch_scc1 .LBB2_217
	s_branch .LBB2_220
.LBB2_218:                              ;   in Loop: Header=BB2_166 Depth=1
	s_branch .LBB2_221
.LBB2_219:                              ;   in Loop: Header=BB2_166 Depth=1
	v_mov_b32_e32 v20, 0
	v_mov_b32_e32 v21, 0
.LBB2_220:                              ;   in Loop: Header=BB2_166 Depth=1
	s_cbranch_execnz .LBB2_222
.LBB2_221:                              ;   in Loop: Header=BB2_166 Depth=1
	global_load_dwordx2 v[20:21], v26, s[12:13]
.LBB2_222:                              ;   in Loop: Header=BB2_166 Depth=1
	v_readfirstlane_b32 s4, v38
	v_mov_b32_e32 v2, 0
	v_mov_b32_e32 v3, 0
	v_cmp_eq_u32_e64 s[4:5], s4, v38
	s_and_saveexec_b64 s[12:13], s[4:5]
	s_cbranch_execz .LBB2_228
; %bb.223:                              ;   in Loop: Header=BB2_166 Depth=1
	global_load_dwordx2 v[24:25], v26, s[34:35] offset:24 glc
	s_waitcnt vmcnt(0)
	buffer_wbinvl1_vol
	global_load_dwordx2 v[2:3], v26, s[34:35] offset:40
	global_load_dwordx2 v[22:23], v26, s[34:35]
	s_waitcnt vmcnt(1)
	v_and_b32_e32 v2, v2, v24
	v_and_b32_e32 v3, v3, v25
	v_mul_lo_u32 v3, v3, 24
	v_mul_hi_u32 v27, v2, 24
	v_mul_lo_u32 v2, v2, 24
	v_add_u32_e32 v3, v27, v3
	s_waitcnt vmcnt(0)
	v_add_co_u32_e32 v2, vcc, v22, v2
	v_addc_co_u32_e32 v3, vcc, v23, v3, vcc
	global_load_dwordx2 v[22:23], v[2:3], off glc
	s_waitcnt vmcnt(0)
	global_atomic_cmpswap_x2 v[2:3], v26, v[22:25], s[34:35] offset:24 glc
	s_waitcnt vmcnt(0)
	buffer_wbinvl1_vol
	v_cmp_ne_u64_e32 vcc, v[2:3], v[24:25]
	s_and_saveexec_b64 s[14:15], vcc
	s_cbranch_execz .LBB2_227
; %bb.224:                              ;   in Loop: Header=BB2_166 Depth=1
	s_mov_b64 s[16:17], 0
.LBB2_225:                              ;   Parent Loop BB2_166 Depth=1
                                        ; =>  This Inner Loop Header: Depth=2
	s_sleep 1
	global_load_dwordx2 v[22:23], v26, s[34:35] offset:40
	global_load_dwordx2 v[27:28], v26, s[34:35]
	v_mov_b32_e32 v25, v3
	v_mov_b32_e32 v24, v2
	s_waitcnt vmcnt(1)
	v_and_b32_e32 v2, v22, v24
	s_waitcnt vmcnt(0)
	v_mad_u64_u32 v[2:3], s[18:19], v2, 24, v[27:28]
	v_and_b32_e32 v22, v23, v25
	v_mad_u64_u32 v[22:23], s[18:19], v22, 24, v[3:4]
	v_mov_b32_e32 v3, v22
	global_load_dwordx2 v[22:23], v[2:3], off glc
	s_waitcnt vmcnt(0)
	global_atomic_cmpswap_x2 v[2:3], v26, v[22:25], s[34:35] offset:24 glc
	s_waitcnt vmcnt(0)
	buffer_wbinvl1_vol
	v_cmp_eq_u64_e32 vcc, v[2:3], v[24:25]
	s_or_b64 s[16:17], vcc, s[16:17]
	s_andn2_b64 exec, exec, s[16:17]
	s_cbranch_execnz .LBB2_225
; %bb.226:                              ;   in Loop: Header=BB2_166 Depth=1
	s_or_b64 exec, exec, s[16:17]
.LBB2_227:                              ;   in Loop: Header=BB2_166 Depth=1
	s_or_b64 exec, exec, s[14:15]
.LBB2_228:                              ;   in Loop: Header=BB2_166 Depth=1
	s_or_b64 exec, exec, s[12:13]
	global_load_dwordx2 v[27:28], v26, s[34:35] offset:40
	global_load_dwordx4 v[22:25], v26, s[34:35]
	v_readfirstlane_b32 s13, v3
	v_readfirstlane_b32 s12, v2
	s_mov_b64 s[14:15], exec
	s_waitcnt vmcnt(1)
	v_readfirstlane_b32 s16, v27
	v_readfirstlane_b32 s17, v28
	s_and_b64 s[16:17], s[16:17], s[12:13]
	s_mul_i32 s18, s17, 24
	s_mul_hi_u32 s19, s16, 24
	s_mul_i32 s20, s16, 24
	s_add_i32 s18, s19, s18
	v_mov_b32_e32 v2, s18
	s_waitcnt vmcnt(0)
	v_add_co_u32_e32 v27, vcc, s20, v22
	v_addc_co_u32_e32 v28, vcc, v23, v2, vcc
	s_and_saveexec_b64 s[18:19], s[4:5]
	s_cbranch_execz .LBB2_230
; %bb.229:                              ;   in Loop: Header=BB2_166 Depth=1
	v_mov_b32_e32 v2, s14
	v_mov_b32_e32 v3, s15
	global_store_dwordx4 v[27:28], v[2:5], off offset:8
.LBB2_230:                              ;   in Loop: Header=BB2_166 Depth=1
	s_or_b64 exec, exec, s[18:19]
	s_lshl_b64 s[14:15], s[16:17], 12
	v_cmp_gt_u64_e64 s[16:17], s[8:9], 56
	v_mov_b32_e32 v2, s15
	v_add_co_u32_e32 v24, vcc, s14, v24
	s_and_b64 s[14:15], s[16:17], exec
	s_cselect_b32 s14, 0, 2
	s_lshl_b32 s15, s10, 2
	v_addc_co_u32_e32 v29, vcc, v25, v2, vcc
	s_add_i32 s15, s15, 28
	v_and_b32_e32 v2, 0xffffff1f, v6
	s_and_b32 s15, s15, 0x1e0
	v_or_b32_e32 v2, s14, v2
	v_or_b32_e32 v6, s15, v2
	v_readfirstlane_b32 s14, v24
	v_readfirstlane_b32 s15, v29
	s_nop 4
	global_store_dwordx4 v37, v[6:9], s[14:15]
	global_store_dwordx4 v37, v[10:13], s[14:15] offset:16
	global_store_dwordx4 v37, v[14:17], s[14:15] offset:32
	global_store_dwordx4 v37, v[18:21], s[14:15] offset:48
	s_and_saveexec_b64 s[14:15], s[4:5]
	s_cbranch_execz .LBB2_238
; %bb.231:                              ;   in Loop: Header=BB2_166 Depth=1
	global_load_dwordx2 v[10:11], v26, s[34:35] offset:32 glc
	global_load_dwordx2 v[2:3], v26, s[34:35] offset:40
	v_mov_b32_e32 v8, s12
	v_mov_b32_e32 v9, s13
	s_waitcnt vmcnt(0)
	v_readfirstlane_b32 s16, v2
	v_readfirstlane_b32 s17, v3
	s_and_b64 s[16:17], s[16:17], s[12:13]
	s_mul_i32 s17, s17, 24
	s_mul_hi_u32 s18, s16, 24
	s_mul_i32 s16, s16, 24
	s_add_i32 s17, s18, s17
	v_mov_b32_e32 v3, s17
	v_add_co_u32_e32 v2, vcc, s16, v22
	v_addc_co_u32_e32 v3, vcc, v23, v3, vcc
	global_store_dwordx2 v[2:3], v[10:11], off
	s_waitcnt vmcnt(0)
	global_atomic_cmpswap_x2 v[8:9], v26, v[8:11], s[34:35] offset:32 glc
	s_waitcnt vmcnt(0)
	v_cmp_ne_u64_e32 vcc, v[8:9], v[10:11]
	s_and_saveexec_b64 s[16:17], vcc
	s_cbranch_execz .LBB2_234
; %bb.232:                              ;   in Loop: Header=BB2_166 Depth=1
	s_mov_b64 s[18:19], 0
.LBB2_233:                              ;   Parent Loop BB2_166 Depth=1
                                        ; =>  This Inner Loop Header: Depth=2
	s_sleep 1
	global_store_dwordx2 v[2:3], v[8:9], off
	v_mov_b32_e32 v6, s12
	v_mov_b32_e32 v7, s13
	s_waitcnt vmcnt(0)
	global_atomic_cmpswap_x2 v[6:7], v26, v[6:9], s[34:35] offset:32 glc
	s_waitcnt vmcnt(0)
	v_cmp_eq_u64_e32 vcc, v[6:7], v[8:9]
	v_mov_b32_e32 v9, v7
	s_or_b64 s[18:19], vcc, s[18:19]
	v_mov_b32_e32 v8, v6
	s_andn2_b64 exec, exec, s[18:19]
	s_cbranch_execnz .LBB2_233
.LBB2_234:                              ;   in Loop: Header=BB2_166 Depth=1
	s_or_b64 exec, exec, s[16:17]
	global_load_dwordx2 v[2:3], v26, s[34:35] offset:16
	s_mov_b64 s[18:19], exec
	v_mbcnt_lo_u32_b32 v6, s18, 0
	v_mbcnt_hi_u32_b32 v6, s19, v6
	v_cmp_eq_u32_e32 vcc, 0, v6
	s_and_saveexec_b64 s[16:17], vcc
	s_cbranch_execz .LBB2_236
; %bb.235:                              ;   in Loop: Header=BB2_166 Depth=1
	s_bcnt1_i32_b64 s18, s[18:19]
	v_mov_b32_e32 v25, s18
	s_waitcnt vmcnt(0)
	global_atomic_add_x2 v[2:3], v[25:26], off offset:8
.LBB2_236:                              ;   in Loop: Header=BB2_166 Depth=1
	s_or_b64 exec, exec, s[16:17]
	s_waitcnt vmcnt(0)
	global_load_dwordx2 v[6:7], v[2:3], off offset:16
	s_waitcnt vmcnt(0)
	v_cmp_eq_u64_e32 vcc, 0, v[6:7]
	s_cbranch_vccnz .LBB2_238
; %bb.237:                              ;   in Loop: Header=BB2_166 Depth=1
	global_load_dword v25, v[2:3], off offset:24
	s_waitcnt vmcnt(0)
	v_readfirstlane_b32 s16, v25
	s_and_b32 m0, s16, 0xffffff
	global_store_dwordx2 v[6:7], v[25:26], off
	s_sendmsg sendmsg(MSG_INTERRUPT)
.LBB2_238:                              ;   in Loop: Header=BB2_166 Depth=1
	s_or_b64 exec, exec, s[14:15]
	v_add_co_u32_e32 v2, vcc, v24, v37
	v_addc_co_u32_e32 v3, vcc, 0, v29, vcc
	s_branch .LBB2_242
.LBB2_239:                              ;   in Loop: Header=BB2_242 Depth=2
	s_or_b64 exec, exec, s[14:15]
	v_readfirstlane_b32 s14, v6
	s_cmp_eq_u32 s14, 0
	s_cbranch_scc1 .LBB2_241
; %bb.240:                              ;   in Loop: Header=BB2_242 Depth=2
	s_sleep 1
	s_cbranch_execnz .LBB2_242
	s_branch .LBB2_244
.LBB2_241:                              ;   in Loop: Header=BB2_166 Depth=1
	s_branch .LBB2_244
.LBB2_242:                              ;   Parent Loop BB2_166 Depth=1
                                        ; =>  This Inner Loop Header: Depth=2
	v_mov_b32_e32 v6, 1
	s_and_saveexec_b64 s[14:15], s[4:5]
	s_cbranch_execz .LBB2_239
; %bb.243:                              ;   in Loop: Header=BB2_242 Depth=2
	global_load_dword v6, v[27:28], off offset:20 glc
	s_waitcnt vmcnt(0)
	buffer_wbinvl1_vol
	v_and_b32_e32 v6, 1, v6
	s_branch .LBB2_239
.LBB2_244:                              ;   in Loop: Header=BB2_166 Depth=1
	global_load_dwordx4 v[6:9], v[2:3], off
	s_and_saveexec_b64 s[14:15], s[4:5]
	s_cbranch_execz .LBB2_165
; %bb.245:                              ;   in Loop: Header=BB2_166 Depth=1
	global_load_dwordx2 v[2:3], v26, s[34:35] offset:40
	global_load_dwordx2 v[12:13], v26, s[34:35] offset:24 glc
	global_load_dwordx2 v[8:9], v26, s[34:35]
	s_waitcnt vmcnt(2)
	v_readfirstlane_b32 s16, v2
	v_readfirstlane_b32 s17, v3
	s_add_u32 s18, s16, 1
	s_addc_u32 s19, s17, 0
	s_add_u32 s4, s18, s12
	s_addc_u32 s5, s19, s13
	s_cmp_eq_u64 s[4:5], 0
	s_cselect_b32 s5, s19, s5
	s_cselect_b32 s4, s18, s4
	s_and_b64 s[12:13], s[4:5], s[16:17]
	s_mul_i32 s13, s13, 24
	s_mul_hi_u32 s16, s12, 24
	s_mul_i32 s12, s12, 24
	s_add_i32 s13, s16, s13
	v_mov_b32_e32 v3, s13
	s_waitcnt vmcnt(0)
	v_add_co_u32_e32 v2, vcc, s12, v8
	v_addc_co_u32_e32 v3, vcc, v9, v3, vcc
	v_mov_b32_e32 v10, s4
	global_store_dwordx2 v[2:3], v[12:13], off
	v_mov_b32_e32 v11, s5
	s_waitcnt vmcnt(0)
	global_atomic_cmpswap_x2 v[10:11], v26, v[10:13], s[34:35] offset:24 glc
	s_waitcnt vmcnt(0)
	v_cmp_ne_u64_e32 vcc, v[10:11], v[12:13]
	s_and_b64 exec, exec, vcc
	s_cbranch_execz .LBB2_165
; %bb.246:                              ;   in Loop: Header=BB2_166 Depth=1
	s_mov_b64 s[12:13], 0
.LBB2_247:                              ;   Parent Loop BB2_166 Depth=1
                                        ; =>  This Inner Loop Header: Depth=2
	s_sleep 1
	global_store_dwordx2 v[2:3], v[10:11], off
	v_mov_b32_e32 v8, s4
	v_mov_b32_e32 v9, s5
	s_waitcnt vmcnt(0)
	global_atomic_cmpswap_x2 v[8:9], v26, v[8:11], s[34:35] offset:24 glc
	s_waitcnt vmcnt(0)
	v_cmp_eq_u64_e32 vcc, v[8:9], v[10:11]
	v_mov_b32_e32 v11, v9
	s_or_b64 s[12:13], vcc, s[12:13]
	v_mov_b32_e32 v10, v8
	s_andn2_b64 exec, exec, s[12:13]
	s_cbranch_execnz .LBB2_247
	s_branch .LBB2_165
.LBB2_248:
.LBB2_249:
	s_load_dwordx4 s[28:31], s[26:27], 0x18
	s_mov_b32 s8, 0
	s_waitcnt lgkmcnt(0)
	s_cmp_lt_i32 s29, 0
	s_cbranch_scc0 .LBB2_277
	s_branch .LBB2_445
.LBB2_250:
	s_cbranch_execz .LBB2_249
; %bb.251:
	v_readfirstlane_b32 s4, v38
	s_waitcnt vmcnt(0)
	v_mov_b32_e32 v8, 0
	v_mov_b32_e32 v9, 0
	v_cmp_eq_u32_e64 s[4:5], s4, v38
	s_and_saveexec_b64 s[6:7], s[4:5]
	s_cbranch_execz .LBB2_257
; %bb.252:
	v_mov_b32_e32 v2, 0
	global_load_dwordx2 v[5:6], v2, s[34:35] offset:24 glc
	s_waitcnt vmcnt(0)
	buffer_wbinvl1_vol
	global_load_dwordx2 v[3:4], v2, s[34:35] offset:40
	global_load_dwordx2 v[7:8], v2, s[34:35]
	s_waitcnt vmcnt(1)
	v_and_b32_e32 v3, v3, v5
	v_and_b32_e32 v4, v4, v6
	v_mul_lo_u32 v4, v4, 24
	v_mul_hi_u32 v9, v3, 24
	v_mul_lo_u32 v3, v3, 24
	v_add_u32_e32 v4, v9, v4
	s_waitcnt vmcnt(0)
	v_add_co_u32_e32 v3, vcc, v7, v3
	v_addc_co_u32_e32 v4, vcc, v8, v4, vcc
	global_load_dwordx2 v[3:4], v[3:4], off glc
	s_waitcnt vmcnt(0)
	global_atomic_cmpswap_x2 v[8:9], v2, v[3:6], s[34:35] offset:24 glc
	s_waitcnt vmcnt(0)
	buffer_wbinvl1_vol
	v_cmp_ne_u64_e32 vcc, v[8:9], v[5:6]
	s_and_saveexec_b64 s[8:9], vcc
	s_cbranch_execz .LBB2_256
; %bb.253:
	s_mov_b64 s[10:11], 0
.LBB2_254:                              ; =>This Inner Loop Header: Depth=1
	s_sleep 1
	global_load_dwordx2 v[3:4], v2, s[34:35] offset:40
	global_load_dwordx2 v[10:11], v2, s[34:35]
	v_mov_b32_e32 v5, v8
	v_mov_b32_e32 v6, v9
	s_waitcnt vmcnt(1)
	v_and_b32_e32 v3, v3, v5
	s_waitcnt vmcnt(0)
	v_mad_u64_u32 v[7:8], s[12:13], v3, 24, v[10:11]
	v_and_b32_e32 v4, v4, v6
	v_mov_b32_e32 v3, v8
	v_mad_u64_u32 v[3:4], s[12:13], v4, 24, v[3:4]
	v_mov_b32_e32 v8, v3
	global_load_dwordx2 v[3:4], v[7:8], off glc
	s_waitcnt vmcnt(0)
	global_atomic_cmpswap_x2 v[8:9], v2, v[3:6], s[34:35] offset:24 glc
	s_waitcnt vmcnt(0)
	buffer_wbinvl1_vol
	v_cmp_eq_u64_e32 vcc, v[8:9], v[5:6]
	s_or_b64 s[10:11], vcc, s[10:11]
	s_andn2_b64 exec, exec, s[10:11]
	s_cbranch_execnz .LBB2_254
; %bb.255:
	s_or_b64 exec, exec, s[10:11]
.LBB2_256:
	s_or_b64 exec, exec, s[8:9]
.LBB2_257:
	s_or_b64 exec, exec, s[6:7]
	v_mov_b32_e32 v2, 0
	global_load_dwordx2 v[10:11], v2, s[34:35] offset:40
	global_load_dwordx4 v[4:7], v2, s[34:35]
	v_readfirstlane_b32 s7, v9
	v_readfirstlane_b32 s6, v8
	s_mov_b64 s[8:9], exec
	s_waitcnt vmcnt(1)
	v_readfirstlane_b32 s10, v10
	v_readfirstlane_b32 s11, v11
	s_and_b64 s[10:11], s[10:11], s[6:7]
	s_mul_i32 s12, s11, 24
	s_mul_hi_u32 s13, s10, 24
	s_mul_i32 s14, s10, 24
	s_add_i32 s12, s13, s12
	v_mov_b32_e32 v3, s12
	s_waitcnt vmcnt(0)
	v_add_co_u32_e32 v8, vcc, s14, v4
	v_addc_co_u32_e32 v9, vcc, v5, v3, vcc
	s_and_saveexec_b64 s[12:13], s[4:5]
	s_cbranch_execz .LBB2_259
; %bb.258:
	v_mov_b32_e32 v11, s9
	v_mov_b32_e32 v10, s8
	;; [unrolled: 1-line block ×4, first 2 shown]
	global_store_dwordx4 v[8:9], v[10:13], off offset:8
.LBB2_259:
	s_or_b64 exec, exec, s[12:13]
	s_lshl_b64 s[8:9], s[10:11], 12
	v_mov_b32_e32 v3, s9
	v_add_co_u32_e32 v6, vcc, s8, v6
	v_addc_co_u32_e32 v7, vcc, v7, v3, vcc
	s_movk_i32 s8, 0xff1d
	v_and_or_b32 v0, v0, s8, 34
	s_mov_b32 s8, 0
	v_mov_b32_e32 v3, v2
	v_readfirstlane_b32 s12, v6
	v_readfirstlane_b32 s13, v7
	s_mov_b32 s9, s8
	s_mov_b32 s10, s8
	;; [unrolled: 1-line block ×3, first 2 shown]
	s_nop 1
	global_store_dwordx4 v37, v[0:3], s[12:13]
	s_nop 0
	v_mov_b32_e32 v0, s8
	v_mov_b32_e32 v1, s9
	;; [unrolled: 1-line block ×4, first 2 shown]
	global_store_dwordx4 v37, v[0:3], s[12:13] offset:16
	global_store_dwordx4 v37, v[0:3], s[12:13] offset:32
	;; [unrolled: 1-line block ×3, first 2 shown]
	s_and_saveexec_b64 s[8:9], s[4:5]
	s_cbranch_execz .LBB2_267
; %bb.260:
	v_mov_b32_e32 v6, 0
	global_load_dwordx2 v[12:13], v6, s[34:35] offset:32 glc
	global_load_dwordx2 v[0:1], v6, s[34:35] offset:40
	v_mov_b32_e32 v10, s6
	v_mov_b32_e32 v11, s7
	s_waitcnt vmcnt(0)
	v_readfirstlane_b32 s10, v0
	v_readfirstlane_b32 s11, v1
	s_and_b64 s[10:11], s[10:11], s[6:7]
	s_mul_i32 s11, s11, 24
	s_mul_hi_u32 s12, s10, 24
	s_mul_i32 s10, s10, 24
	s_add_i32 s11, s12, s11
	v_mov_b32_e32 v0, s11
	v_add_co_u32_e32 v4, vcc, s10, v4
	v_addc_co_u32_e32 v5, vcc, v5, v0, vcc
	global_store_dwordx2 v[4:5], v[12:13], off
	s_waitcnt vmcnt(0)
	global_atomic_cmpswap_x2 v[2:3], v6, v[10:13], s[34:35] offset:32 glc
	s_waitcnt vmcnt(0)
	v_cmp_ne_u64_e32 vcc, v[2:3], v[12:13]
	s_and_saveexec_b64 s[10:11], vcc
	s_cbranch_execz .LBB2_263
; %bb.261:
	s_mov_b64 s[12:13], 0
.LBB2_262:                              ; =>This Inner Loop Header: Depth=1
	s_sleep 1
	global_store_dwordx2 v[4:5], v[2:3], off
	v_mov_b32_e32 v0, s6
	v_mov_b32_e32 v1, s7
	s_waitcnt vmcnt(0)
	global_atomic_cmpswap_x2 v[0:1], v6, v[0:3], s[34:35] offset:32 glc
	s_waitcnt vmcnt(0)
	v_cmp_eq_u64_e32 vcc, v[0:1], v[2:3]
	v_mov_b32_e32 v3, v1
	s_or_b64 s[12:13], vcc, s[12:13]
	v_mov_b32_e32 v2, v0
	s_andn2_b64 exec, exec, s[12:13]
	s_cbranch_execnz .LBB2_262
.LBB2_263:
	s_or_b64 exec, exec, s[10:11]
	v_mov_b32_e32 v3, 0
	global_load_dwordx2 v[0:1], v3, s[34:35] offset:16
	s_mov_b64 s[10:11], exec
	v_mbcnt_lo_u32_b32 v2, s10, 0
	v_mbcnt_hi_u32_b32 v2, s11, v2
	v_cmp_eq_u32_e32 vcc, 0, v2
	s_and_saveexec_b64 s[12:13], vcc
	s_cbranch_execz .LBB2_265
; %bb.264:
	s_bcnt1_i32_b64 s10, s[10:11]
	v_mov_b32_e32 v2, s10
	s_waitcnt vmcnt(0)
	global_atomic_add_x2 v[0:1], v[2:3], off offset:8
.LBB2_265:
	s_or_b64 exec, exec, s[12:13]
	s_waitcnt vmcnt(0)
	global_load_dwordx2 v[2:3], v[0:1], off offset:16
	s_waitcnt vmcnt(0)
	v_cmp_eq_u64_e32 vcc, 0, v[2:3]
	s_cbranch_vccnz .LBB2_267
; %bb.266:
	global_load_dword v0, v[0:1], off offset:24
	v_mov_b32_e32 v1, 0
	s_waitcnt vmcnt(0)
	v_readfirstlane_b32 s10, v0
	s_and_b32 m0, s10, 0xffffff
	global_store_dwordx2 v[2:3], v[0:1], off
	s_sendmsg sendmsg(MSG_INTERRUPT)
.LBB2_267:
	s_or_b64 exec, exec, s[8:9]
	s_branch .LBB2_271
.LBB2_268:                              ;   in Loop: Header=BB2_271 Depth=1
	s_or_b64 exec, exec, s[8:9]
	v_readfirstlane_b32 s8, v0
	s_cmp_eq_u32 s8, 0
	s_cbranch_scc1 .LBB2_270
; %bb.269:                              ;   in Loop: Header=BB2_271 Depth=1
	s_sleep 1
	s_cbranch_execnz .LBB2_271
	s_branch .LBB2_273
.LBB2_270:
	s_branch .LBB2_273
.LBB2_271:                              ; =>This Inner Loop Header: Depth=1
	v_mov_b32_e32 v0, 1
	s_and_saveexec_b64 s[8:9], s[4:5]
	s_cbranch_execz .LBB2_268
; %bb.272:                              ;   in Loop: Header=BB2_271 Depth=1
	global_load_dword v0, v[8:9], off offset:20 glc
	s_waitcnt vmcnt(0)
	buffer_wbinvl1_vol
	v_and_b32_e32 v0, 1, v0
	s_branch .LBB2_268
.LBB2_273:
	s_and_saveexec_b64 s[8:9], s[4:5]
	s_cbranch_execz .LBB2_276
; %bb.274:
	v_mov_b32_e32 v6, 0
	global_load_dwordx2 v[0:1], v6, s[34:35] offset:40
	global_load_dwordx2 v[9:10], v6, s[34:35] offset:24 glc
	global_load_dwordx2 v[2:3], v6, s[34:35]
	s_waitcnt vmcnt(2)
	v_readfirstlane_b32 s10, v0
	v_readfirstlane_b32 s11, v1
	s_add_u32 s12, s10, 1
	s_addc_u32 s13, s11, 0
	s_add_u32 s4, s12, s6
	s_addc_u32 s5, s13, s7
	s_cmp_eq_u64 s[4:5], 0
	s_cselect_b32 s5, s13, s5
	s_cselect_b32 s4, s12, s4
	s_and_b64 s[6:7], s[4:5], s[10:11]
	s_mul_i32 s7, s7, 24
	s_mul_hi_u32 s10, s6, 24
	s_mul_i32 s6, s6, 24
	s_add_i32 s7, s10, s7
	v_mov_b32_e32 v0, s7
	s_waitcnt vmcnt(0)
	v_add_co_u32_e32 v4, vcc, s6, v2
	v_addc_co_u32_e32 v5, vcc, v3, v0, vcc
	v_mov_b32_e32 v7, s4
	global_store_dwordx2 v[4:5], v[9:10], off
	v_mov_b32_e32 v8, s5
	s_waitcnt vmcnt(0)
	global_atomic_cmpswap_x2 v[2:3], v6, v[7:10], s[34:35] offset:24 glc
	s_mov_b64 s[6:7], 0
	s_waitcnt vmcnt(0)
	v_cmp_ne_u64_e32 vcc, v[2:3], v[9:10]
	s_and_b64 exec, exec, vcc
	s_cbranch_execz .LBB2_276
.LBB2_275:                              ; =>This Inner Loop Header: Depth=1
	s_sleep 1
	global_store_dwordx2 v[4:5], v[2:3], off
	v_mov_b32_e32 v0, s4
	v_mov_b32_e32 v1, s5
	s_waitcnt vmcnt(0)
	global_atomic_cmpswap_x2 v[0:1], v6, v[0:3], s[34:35] offset:24 glc
	s_waitcnt vmcnt(0)
	v_cmp_eq_u64_e32 vcc, v[0:1], v[2:3]
	v_mov_b32_e32 v3, v1
	s_or_b64 s[6:7], vcc, s[6:7]
	v_mov_b32_e32 v2, v0
	s_andn2_b64 exec, exec, s[6:7]
	s_cbranch_execnz .LBB2_275
.LBB2_276:
	s_or_b64 exec, exec, s[8:9]
	s_load_dwordx4 s[28:31], s[26:27], 0x18
	s_mov_b32 s8, 0
	s_waitcnt lgkmcnt(0)
	s_cmp_lt_i32 s29, 0
	s_cbranch_scc1 .LBB2_445
.LBB2_277:
	s_getpc_b64 s[4:5]
	s_add_u32 s4, s4, .str.7@rel32@lo+4
	s_addc_u32 s5, s5, .str.7@rel32@hi+12
	s_cmp_lg_u64 s[4:5], 0
	s_cselect_b64 s[6:7], -1, 0
	v_mov_b32_e32 v2, 0
	s_mov_b32 s9, s8
	s_mov_b32 s10, s8
	;; [unrolled: 1-line block ×3, first 2 shown]
	s_movk_i32 s31, 0xff1f
	s_movk_i32 s33, 0xff1d
	v_mov_b32_e32 v5, 2
	s_waitcnt vmcnt(0)
	v_mov_b32_e32 v6, 1
	v_mov_b32_e32 v0, 33
	s_mov_b32 s36, s8
	s_branch .LBB2_279
.LBB2_278:                              ;   in Loop: Header=BB2_279 Depth=1
	s_or_b64 exec, exec, s[14:15]
	s_add_i32 s4, s36, 1
	s_cmp_eq_u32 s36, s29
	s_mov_b32 s36, s4
	s_cbranch_scc1 .LBB2_445
.LBB2_279:                              ; =>This Loop Header: Depth=1
                                        ;     Child Loop BB2_282 Depth 2
                                        ;     Child Loop BB2_290 Depth 2
	;; [unrolled: 1-line block ×9, first 2 shown]
                                        ;       Child Loop BB2_311 Depth 3
                                        ;       Child Loop BB2_319 Depth 3
	;; [unrolled: 1-line block ×11, first 2 shown]
                                        ;     Child Loop BB2_422 Depth 2
                                        ;     Child Loop BB2_430 Depth 2
	;; [unrolled: 1-line block ×4, first 2 shown]
	v_readfirstlane_b32 s4, v38
	v_mov_b32_e32 v3, 0
	v_mov_b32_e32 v4, 0
	v_cmp_eq_u32_e64 s[4:5], s4, v38
	s_and_saveexec_b64 s[12:13], s[4:5]
	s_cbranch_execz .LBB2_285
; %bb.280:                              ;   in Loop: Header=BB2_279 Depth=1
	global_load_dwordx2 v[9:10], v2, s[34:35] offset:24 glc
	s_waitcnt vmcnt(0)
	buffer_wbinvl1_vol
	global_load_dwordx2 v[3:4], v2, s[34:35] offset:40
	global_load_dwordx2 v[7:8], v2, s[34:35]
	s_waitcnt vmcnt(1)
	v_and_b32_e32 v1, v3, v9
	v_and_b32_e32 v3, v4, v10
	v_mul_lo_u32 v3, v3, 24
	v_mul_hi_u32 v4, v1, 24
	v_mul_lo_u32 v1, v1, 24
	v_add_u32_e32 v4, v4, v3
	s_waitcnt vmcnt(0)
	v_add_co_u32_e32 v3, vcc, v7, v1
	v_addc_co_u32_e32 v4, vcc, v8, v4, vcc
	global_load_dwordx2 v[7:8], v[3:4], off glc
	s_waitcnt vmcnt(0)
	global_atomic_cmpswap_x2 v[3:4], v2, v[7:10], s[34:35] offset:24 glc
	s_waitcnt vmcnt(0)
	buffer_wbinvl1_vol
	v_cmp_ne_u64_e32 vcc, v[3:4], v[9:10]
	s_and_saveexec_b64 s[14:15], vcc
	s_cbranch_execz .LBB2_284
; %bb.281:                              ;   in Loop: Header=BB2_279 Depth=1
	s_mov_b64 s[16:17], 0
.LBB2_282:                              ;   Parent Loop BB2_279 Depth=1
                                        ; =>  This Inner Loop Header: Depth=2
	s_sleep 1
	global_load_dwordx2 v[7:8], v2, s[34:35] offset:40
	global_load_dwordx2 v[11:12], v2, s[34:35]
	v_mov_b32_e32 v10, v4
	v_mov_b32_e32 v9, v3
	s_waitcnt vmcnt(1)
	v_and_b32_e32 v1, v7, v9
	s_waitcnt vmcnt(0)
	v_mad_u64_u32 v[3:4], s[18:19], v1, 24, v[11:12]
	v_and_b32_e32 v7, v8, v10
	v_mov_b32_e32 v1, v4
	v_mad_u64_u32 v[7:8], s[18:19], v7, 24, v[1:2]
	v_mov_b32_e32 v4, v7
	global_load_dwordx2 v[7:8], v[3:4], off glc
	s_waitcnt vmcnt(0)
	global_atomic_cmpswap_x2 v[3:4], v2, v[7:10], s[34:35] offset:24 glc
	s_waitcnt vmcnt(0)
	buffer_wbinvl1_vol
	v_cmp_eq_u64_e32 vcc, v[3:4], v[9:10]
	s_or_b64 s[16:17], vcc, s[16:17]
	s_andn2_b64 exec, exec, s[16:17]
	s_cbranch_execnz .LBB2_282
; %bb.283:                              ;   in Loop: Header=BB2_279 Depth=1
	s_or_b64 exec, exec, s[16:17]
.LBB2_284:                              ;   in Loop: Header=BB2_279 Depth=1
	s_or_b64 exec, exec, s[14:15]
.LBB2_285:                              ;   in Loop: Header=BB2_279 Depth=1
	s_or_b64 exec, exec, s[12:13]
	global_load_dwordx2 v[11:12], v2, s[34:35] offset:40
	global_load_dwordx4 v[7:10], v2, s[34:35]
	v_readfirstlane_b32 s13, v4
	v_readfirstlane_b32 s12, v3
	s_mov_b64 s[14:15], exec
	s_waitcnt vmcnt(1)
	v_readfirstlane_b32 s16, v11
	v_readfirstlane_b32 s17, v12
	s_and_b64 s[16:17], s[16:17], s[12:13]
	s_mul_i32 s18, s17, 24
	s_mul_hi_u32 s19, s16, 24
	s_mul_i32 s20, s16, 24
	s_add_i32 s18, s19, s18
	v_mov_b32_e32 v1, s18
	s_waitcnt vmcnt(0)
	v_add_co_u32_e32 v11, vcc, s20, v7
	v_addc_co_u32_e32 v12, vcc, v8, v1, vcc
	s_and_saveexec_b64 s[18:19], s[4:5]
	s_cbranch_execz .LBB2_287
; %bb.286:                              ;   in Loop: Header=BB2_279 Depth=1
	v_mov_b32_e32 v3, s14
	v_mov_b32_e32 v4, s15
	global_store_dwordx4 v[11:12], v[3:6], off offset:8
.LBB2_287:                              ;   in Loop: Header=BB2_279 Depth=1
	s_or_b64 exec, exec, s[18:19]
	s_lshl_b64 s[14:15], s[16:17], 12
	v_mov_b32_e32 v1, s15
	v_add_co_u32_e32 v13, vcc, s14, v9
	v_addc_co_u32_e32 v14, vcc, v10, v1, vcc
	v_mov_b32_e32 v18, s11
	v_mov_b32_e32 v1, v2
	;; [unrolled: 1-line block ×3, first 2 shown]
	v_readfirstlane_b32 s14, v13
	v_readfirstlane_b32 s15, v14
	v_mov_b32_e32 v17, s10
	v_mov_b32_e32 v16, s9
	;; [unrolled: 1-line block ×3, first 2 shown]
	s_nop 1
	global_store_dwordx4 v37, v[0:3], s[14:15]
	global_store_dwordx4 v37, v[15:18], s[14:15] offset:16
	global_store_dwordx4 v37, v[15:18], s[14:15] offset:32
	global_store_dwordx4 v37, v[15:18], s[14:15] offset:48
	s_and_saveexec_b64 s[14:15], s[4:5]
	s_cbranch_execz .LBB2_295
; %bb.288:                              ;   in Loop: Header=BB2_279 Depth=1
	global_load_dwordx2 v[17:18], v2, s[34:35] offset:32 glc
	global_load_dwordx2 v[3:4], v2, s[34:35] offset:40
	v_mov_b32_e32 v15, s12
	v_mov_b32_e32 v16, s13
	s_waitcnt vmcnt(0)
	v_readfirstlane_b32 s16, v3
	v_readfirstlane_b32 s17, v4
	s_and_b64 s[16:17], s[16:17], s[12:13]
	s_mul_i32 s17, s17, 24
	s_mul_hi_u32 s18, s16, 24
	s_mul_i32 s16, s16, 24
	s_add_i32 s17, s18, s17
	v_mov_b32_e32 v1, s17
	v_add_co_u32_e32 v3, vcc, s16, v7
	v_addc_co_u32_e32 v4, vcc, v8, v1, vcc
	global_store_dwordx2 v[3:4], v[17:18], off
	s_waitcnt vmcnt(0)
	global_atomic_cmpswap_x2 v[9:10], v2, v[15:18], s[34:35] offset:32 glc
	s_waitcnt vmcnt(0)
	v_cmp_ne_u64_e32 vcc, v[9:10], v[17:18]
	s_and_saveexec_b64 s[16:17], vcc
	s_cbranch_execz .LBB2_291
; %bb.289:                              ;   in Loop: Header=BB2_279 Depth=1
	s_mov_b64 s[18:19], 0
.LBB2_290:                              ;   Parent Loop BB2_279 Depth=1
                                        ; =>  This Inner Loop Header: Depth=2
	s_sleep 1
	global_store_dwordx2 v[3:4], v[9:10], off
	v_mov_b32_e32 v7, s12
	v_mov_b32_e32 v8, s13
	s_waitcnt vmcnt(0)
	global_atomic_cmpswap_x2 v[7:8], v2, v[7:10], s[34:35] offset:32 glc
	s_waitcnt vmcnt(0)
	v_cmp_eq_u64_e32 vcc, v[7:8], v[9:10]
	v_mov_b32_e32 v10, v8
	s_or_b64 s[18:19], vcc, s[18:19]
	v_mov_b32_e32 v9, v7
	s_andn2_b64 exec, exec, s[18:19]
	s_cbranch_execnz .LBB2_290
.LBB2_291:                              ;   in Loop: Header=BB2_279 Depth=1
	s_or_b64 exec, exec, s[16:17]
	global_load_dwordx2 v[3:4], v2, s[34:35] offset:16
	s_mov_b64 s[18:19], exec
	v_mbcnt_lo_u32_b32 v1, s18, 0
	v_mbcnt_hi_u32_b32 v1, s19, v1
	v_cmp_eq_u32_e32 vcc, 0, v1
	s_and_saveexec_b64 s[16:17], vcc
	s_cbranch_execz .LBB2_293
; %bb.292:                              ;   in Loop: Header=BB2_279 Depth=1
	s_bcnt1_i32_b64 s18, s[18:19]
	v_mov_b32_e32 v1, s18
	s_waitcnt vmcnt(0)
	global_atomic_add_x2 v[3:4], v[1:2], off offset:8
.LBB2_293:                              ;   in Loop: Header=BB2_279 Depth=1
	s_or_b64 exec, exec, s[16:17]
	s_waitcnt vmcnt(0)
	global_load_dwordx2 v[7:8], v[3:4], off offset:16
	s_waitcnt vmcnt(0)
	v_cmp_eq_u64_e32 vcc, 0, v[7:8]
	s_cbranch_vccnz .LBB2_295
; %bb.294:                              ;   in Loop: Header=BB2_279 Depth=1
	global_load_dword v1, v[3:4], off offset:24
	s_waitcnt vmcnt(0)
	v_readfirstlane_b32 s16, v1
	s_and_b32 m0, s16, 0xffffff
	global_store_dwordx2 v[7:8], v[1:2], off
	s_sendmsg sendmsg(MSG_INTERRUPT)
.LBB2_295:                              ;   in Loop: Header=BB2_279 Depth=1
	s_or_b64 exec, exec, s[14:15]
	v_add_co_u32_e32 v3, vcc, v13, v37
	v_addc_co_u32_e32 v4, vcc, 0, v14, vcc
	s_branch .LBB2_299
.LBB2_296:                              ;   in Loop: Header=BB2_299 Depth=2
	s_or_b64 exec, exec, s[14:15]
	v_readfirstlane_b32 s14, v1
	s_cmp_eq_u32 s14, 0
	s_cbranch_scc1 .LBB2_298
; %bb.297:                              ;   in Loop: Header=BB2_299 Depth=2
	s_sleep 1
	s_cbranch_execnz .LBB2_299
	s_branch .LBB2_301
.LBB2_298:                              ;   in Loop: Header=BB2_279 Depth=1
	s_branch .LBB2_301
.LBB2_299:                              ;   Parent Loop BB2_279 Depth=1
                                        ; =>  This Inner Loop Header: Depth=2
	v_mov_b32_e32 v1, 1
	s_and_saveexec_b64 s[14:15], s[4:5]
	s_cbranch_execz .LBB2_296
; %bb.300:                              ;   in Loop: Header=BB2_299 Depth=2
	global_load_dword v1, v[11:12], off offset:20 glc
	s_waitcnt vmcnt(0)
	buffer_wbinvl1_vol
	v_and_b32_e32 v1, 1, v1
	s_branch .LBB2_296
.LBB2_301:                              ;   in Loop: Header=BB2_279 Depth=1
	global_load_dwordx2 v[7:8], v[3:4], off
	s_and_saveexec_b64 s[14:15], s[4:5]
	s_cbranch_execz .LBB2_305
; %bb.302:                              ;   in Loop: Header=BB2_279 Depth=1
	global_load_dwordx2 v[3:4], v2, s[34:35] offset:40
	global_load_dwordx2 v[13:14], v2, s[34:35] offset:24 glc
	global_load_dwordx2 v[9:10], v2, s[34:35]
	s_waitcnt vmcnt(2)
	v_readfirstlane_b32 s16, v3
	v_readfirstlane_b32 s17, v4
	s_add_u32 s18, s16, 1
	s_addc_u32 s19, s17, 0
	s_add_u32 s4, s18, s12
	s_addc_u32 s5, s19, s13
	s_cmp_eq_u64 s[4:5], 0
	s_cselect_b32 s5, s19, s5
	s_cselect_b32 s4, s18, s4
	s_and_b64 s[12:13], s[4:5], s[16:17]
	s_mul_i32 s13, s13, 24
	s_mul_hi_u32 s16, s12, 24
	s_mul_i32 s12, s12, 24
	s_add_i32 s13, s16, s13
	v_mov_b32_e32 v1, s13
	s_waitcnt vmcnt(0)
	v_add_co_u32_e32 v3, vcc, s12, v9
	v_addc_co_u32_e32 v4, vcc, v10, v1, vcc
	v_mov_b32_e32 v11, s4
	global_store_dwordx2 v[3:4], v[13:14], off
	v_mov_b32_e32 v12, s5
	s_waitcnt vmcnt(0)
	global_atomic_cmpswap_x2 v[11:12], v2, v[11:14], s[34:35] offset:24 glc
	s_waitcnt vmcnt(0)
	v_cmp_ne_u64_e32 vcc, v[11:12], v[13:14]
	s_and_b64 exec, exec, vcc
	s_cbranch_execz .LBB2_305
; %bb.303:                              ;   in Loop: Header=BB2_279 Depth=1
	s_mov_b64 s[12:13], 0
.LBB2_304:                              ;   Parent Loop BB2_279 Depth=1
                                        ; =>  This Inner Loop Header: Depth=2
	s_sleep 1
	global_store_dwordx2 v[3:4], v[11:12], off
	v_mov_b32_e32 v9, s4
	v_mov_b32_e32 v10, s5
	s_waitcnt vmcnt(0)
	global_atomic_cmpswap_x2 v[9:10], v2, v[9:12], s[34:35] offset:24 glc
	s_waitcnt vmcnt(0)
	v_cmp_eq_u64_e32 vcc, v[9:10], v[11:12]
	v_mov_b32_e32 v12, v10
	s_or_b64 s[12:13], vcc, s[12:13]
	v_mov_b32_e32 v11, v9
	s_andn2_b64 exec, exec, s[12:13]
	s_cbranch_execnz .LBB2_304
.LBB2_305:                              ;   in Loop: Header=BB2_279 Depth=1
	s_or_b64 exec, exec, s[14:15]
	s_and_b64 vcc, exec, s[6:7]
	s_cbranch_vccz .LBB2_391
; %bb.306:                              ;   in Loop: Header=BB2_279 Depth=1
	s_waitcnt vmcnt(0)
	v_and_b32_e32 v9, -3, v7
	v_mov_b32_e32 v10, v8
	s_mov_b64 s[14:15], 4
	s_getpc_b64 s[12:13]
	s_add_u32 s12, s12, .str.7@rel32@lo+4
	s_addc_u32 s13, s13, .str.7@rel32@hi+12
	s_branch .LBB2_308
.LBB2_307:                              ;   in Loop: Header=BB2_308 Depth=2
	s_or_b64 exec, exec, s[20:21]
	s_sub_u32 s14, s14, s16
	s_subb_u32 s15, s15, s17
	s_add_u32 s12, s12, s16
	s_addc_u32 s13, s13, s17
	s_cmp_lg_u64 s[14:15], 0
	s_cbranch_scc0 .LBB2_390
.LBB2_308:                              ;   Parent Loop BB2_279 Depth=1
                                        ; =>  This Loop Header: Depth=2
                                        ;       Child Loop BB2_311 Depth 3
                                        ;       Child Loop BB2_319 Depth 3
	;; [unrolled: 1-line block ×11, first 2 shown]
	v_cmp_lt_u64_e64 s[4:5], s[14:15], 56
	v_cmp_gt_u64_e64 s[18:19], s[14:15], 7
	s_and_b64 s[4:5], s[4:5], exec
	s_cselect_b32 s17, s15, 0
	s_cselect_b32 s16, s14, 56
	s_add_u32 s4, s12, 8
	s_addc_u32 s5, s13, 0
	s_and_b64 vcc, exec, s[18:19]
	s_cbranch_vccnz .LBB2_312
; %bb.309:                              ;   in Loop: Header=BB2_308 Depth=2
	s_cmp_eq_u64 s[14:15], 0
	s_cbranch_scc1 .LBB2_313
; %bb.310:                              ;   in Loop: Header=BB2_308 Depth=2
	v_mov_b32_e32 v11, 0
	s_lshl_b64 s[4:5], s[16:17], 3
	s_mov_b64 s[18:19], 0
	v_mov_b32_e32 v12, 0
	s_mov_b64 s[20:21], s[12:13]
.LBB2_311:                              ;   Parent Loop BB2_279 Depth=1
                                        ;     Parent Loop BB2_308 Depth=2
                                        ; =>    This Inner Loop Header: Depth=3
	global_load_ubyte v1, v2, s[20:21]
	s_waitcnt vmcnt(0)
	v_and_b32_e32 v1, 0xffff, v1
	v_lshlrev_b64 v[3:4], s18, v[1:2]
	s_add_u32 s18, s18, 8
	s_addc_u32 s19, s19, 0
	s_add_u32 s20, s20, 1
	s_addc_u32 s21, s21, 0
	v_or_b32_e32 v11, v3, v11
	s_cmp_lg_u32 s4, s18
	v_or_b32_e32 v12, v4, v12
	s_cbranch_scc1 .LBB2_311
	s_branch .LBB2_314
.LBB2_312:                              ;   in Loop: Header=BB2_308 Depth=2
	s_mov_b32 s22, 0
	s_branch .LBB2_315
.LBB2_313:                              ;   in Loop: Header=BB2_308 Depth=2
	v_mov_b32_e32 v11, 0
	v_mov_b32_e32 v12, 0
.LBB2_314:                              ;   in Loop: Header=BB2_308 Depth=2
	s_mov_b64 s[4:5], s[12:13]
	s_mov_b32 s22, 0
	s_cbranch_execnz .LBB2_316
.LBB2_315:                              ;   in Loop: Header=BB2_308 Depth=2
	global_load_dwordx2 v[11:12], v2, s[12:13]
	s_add_i32 s22, s16, -8
.LBB2_316:                              ;   in Loop: Header=BB2_308 Depth=2
	s_add_u32 s18, s4, 8
	s_addc_u32 s19, s5, 0
	s_cmp_gt_u32 s22, 7
	s_cbranch_scc1 .LBB2_320
; %bb.317:                              ;   in Loop: Header=BB2_308 Depth=2
	s_cmp_eq_u32 s22, 0
	s_cbranch_scc1 .LBB2_321
; %bb.318:                              ;   in Loop: Header=BB2_308 Depth=2
	v_mov_b32_e32 v13, 0
	s_mov_b64 s[18:19], 0
	v_mov_b32_e32 v14, 0
	s_mov_b64 s[20:21], 0
.LBB2_319:                              ;   Parent Loop BB2_279 Depth=1
                                        ;     Parent Loop BB2_308 Depth=2
                                        ; =>    This Inner Loop Header: Depth=3
	s_add_u32 s24, s4, s20
	s_addc_u32 s25, s5, s21
	global_load_ubyte v1, v2, s[24:25]
	s_add_u32 s20, s20, 1
	s_addc_u32 s21, s21, 0
	s_waitcnt vmcnt(0)
	v_and_b32_e32 v1, 0xffff, v1
	v_lshlrev_b64 v[3:4], s18, v[1:2]
	s_add_u32 s18, s18, 8
	s_addc_u32 s19, s19, 0
	v_or_b32_e32 v13, v3, v13
	s_cmp_lg_u32 s22, s20
	v_or_b32_e32 v14, v4, v14
	s_cbranch_scc1 .LBB2_319
	s_branch .LBB2_322
.LBB2_320:                              ;   in Loop: Header=BB2_308 Depth=2
                                        ; implicit-def: $vgpr13_vgpr14
	s_mov_b32 s23, 0
	s_branch .LBB2_323
.LBB2_321:                              ;   in Loop: Header=BB2_308 Depth=2
	v_mov_b32_e32 v13, 0
	v_mov_b32_e32 v14, 0
.LBB2_322:                              ;   in Loop: Header=BB2_308 Depth=2
	s_mov_b64 s[18:19], s[4:5]
	s_mov_b32 s23, 0
	s_cbranch_execnz .LBB2_324
.LBB2_323:                              ;   in Loop: Header=BB2_308 Depth=2
	global_load_dwordx2 v[13:14], v2, s[4:5]
	s_add_i32 s23, s22, -8
.LBB2_324:                              ;   in Loop: Header=BB2_308 Depth=2
	s_add_u32 s4, s18, 8
	s_addc_u32 s5, s19, 0
	s_cmp_gt_u32 s23, 7
	s_cbranch_scc1 .LBB2_328
; %bb.325:                              ;   in Loop: Header=BB2_308 Depth=2
	s_cmp_eq_u32 s23, 0
	s_cbranch_scc1 .LBB2_329
; %bb.326:                              ;   in Loop: Header=BB2_308 Depth=2
	v_mov_b32_e32 v15, 0
	s_mov_b64 s[4:5], 0
	v_mov_b32_e32 v16, 0
	s_mov_b64 s[20:21], 0
.LBB2_327:                              ;   Parent Loop BB2_279 Depth=1
                                        ;     Parent Loop BB2_308 Depth=2
                                        ; =>    This Inner Loop Header: Depth=3
	s_add_u32 s24, s18, s20
	s_addc_u32 s25, s19, s21
	global_load_ubyte v1, v2, s[24:25]
	s_add_u32 s20, s20, 1
	s_addc_u32 s21, s21, 0
	s_waitcnt vmcnt(0)
	v_and_b32_e32 v1, 0xffff, v1
	v_lshlrev_b64 v[3:4], s4, v[1:2]
	s_add_u32 s4, s4, 8
	s_addc_u32 s5, s5, 0
	v_or_b32_e32 v15, v3, v15
	s_cmp_lg_u32 s23, s20
	v_or_b32_e32 v16, v4, v16
	s_cbranch_scc1 .LBB2_327
	s_branch .LBB2_330
.LBB2_328:                              ;   in Loop: Header=BB2_308 Depth=2
	s_mov_b32 s22, 0
	s_branch .LBB2_331
.LBB2_329:                              ;   in Loop: Header=BB2_308 Depth=2
	v_mov_b32_e32 v15, 0
	v_mov_b32_e32 v16, 0
.LBB2_330:                              ;   in Loop: Header=BB2_308 Depth=2
	s_mov_b64 s[4:5], s[18:19]
	s_mov_b32 s22, 0
	s_cbranch_execnz .LBB2_332
.LBB2_331:                              ;   in Loop: Header=BB2_308 Depth=2
	global_load_dwordx2 v[15:16], v2, s[18:19]
	s_add_i32 s22, s23, -8
.LBB2_332:                              ;   in Loop: Header=BB2_308 Depth=2
	s_add_u32 s18, s4, 8
	s_addc_u32 s19, s5, 0
	s_cmp_gt_u32 s22, 7
	s_cbranch_scc1 .LBB2_336
; %bb.333:                              ;   in Loop: Header=BB2_308 Depth=2
	s_cmp_eq_u32 s22, 0
	s_cbranch_scc1 .LBB2_337
; %bb.334:                              ;   in Loop: Header=BB2_308 Depth=2
	v_mov_b32_e32 v17, 0
	s_mov_b64 s[18:19], 0
	v_mov_b32_e32 v18, 0
	s_mov_b64 s[20:21], 0
.LBB2_335:                              ;   Parent Loop BB2_279 Depth=1
                                        ;     Parent Loop BB2_308 Depth=2
                                        ; =>    This Inner Loop Header: Depth=3
	s_add_u32 s24, s4, s20
	s_addc_u32 s25, s5, s21
	global_load_ubyte v1, v2, s[24:25]
	s_add_u32 s20, s20, 1
	s_addc_u32 s21, s21, 0
	s_waitcnt vmcnt(0)
	v_and_b32_e32 v1, 0xffff, v1
	v_lshlrev_b64 v[3:4], s18, v[1:2]
	s_add_u32 s18, s18, 8
	s_addc_u32 s19, s19, 0
	v_or_b32_e32 v17, v3, v17
	s_cmp_lg_u32 s22, s20
	v_or_b32_e32 v18, v4, v18
	s_cbranch_scc1 .LBB2_335
	s_branch .LBB2_338
.LBB2_336:                              ;   in Loop: Header=BB2_308 Depth=2
                                        ; implicit-def: $vgpr17_vgpr18
	s_mov_b32 s23, 0
	s_branch .LBB2_339
.LBB2_337:                              ;   in Loop: Header=BB2_308 Depth=2
	v_mov_b32_e32 v17, 0
	v_mov_b32_e32 v18, 0
.LBB2_338:                              ;   in Loop: Header=BB2_308 Depth=2
	s_mov_b64 s[18:19], s[4:5]
	s_mov_b32 s23, 0
	s_cbranch_execnz .LBB2_340
.LBB2_339:                              ;   in Loop: Header=BB2_308 Depth=2
	global_load_dwordx2 v[17:18], v2, s[4:5]
	s_add_i32 s23, s22, -8
.LBB2_340:                              ;   in Loop: Header=BB2_308 Depth=2
	s_add_u32 s4, s18, 8
	s_addc_u32 s5, s19, 0
	s_cmp_gt_u32 s23, 7
	s_cbranch_scc1 .LBB2_344
; %bb.341:                              ;   in Loop: Header=BB2_308 Depth=2
	s_cmp_eq_u32 s23, 0
	s_cbranch_scc1 .LBB2_345
; %bb.342:                              ;   in Loop: Header=BB2_308 Depth=2
	v_mov_b32_e32 v19, 0
	s_mov_b64 s[4:5], 0
	v_mov_b32_e32 v20, 0
	s_mov_b64 s[20:21], 0
.LBB2_343:                              ;   Parent Loop BB2_279 Depth=1
                                        ;     Parent Loop BB2_308 Depth=2
                                        ; =>    This Inner Loop Header: Depth=3
	s_add_u32 s24, s18, s20
	s_addc_u32 s25, s19, s21
	global_load_ubyte v1, v2, s[24:25]
	s_add_u32 s20, s20, 1
	s_addc_u32 s21, s21, 0
	s_waitcnt vmcnt(0)
	v_and_b32_e32 v1, 0xffff, v1
	v_lshlrev_b64 v[3:4], s4, v[1:2]
	s_add_u32 s4, s4, 8
	s_addc_u32 s5, s5, 0
	v_or_b32_e32 v19, v3, v19
	s_cmp_lg_u32 s23, s20
	v_or_b32_e32 v20, v4, v20
	s_cbranch_scc1 .LBB2_343
	s_branch .LBB2_346
.LBB2_344:                              ;   in Loop: Header=BB2_308 Depth=2
	s_mov_b32 s22, 0
	s_branch .LBB2_347
.LBB2_345:                              ;   in Loop: Header=BB2_308 Depth=2
	v_mov_b32_e32 v19, 0
	v_mov_b32_e32 v20, 0
.LBB2_346:                              ;   in Loop: Header=BB2_308 Depth=2
	s_mov_b64 s[4:5], s[18:19]
	s_mov_b32 s22, 0
	s_cbranch_execnz .LBB2_348
.LBB2_347:                              ;   in Loop: Header=BB2_308 Depth=2
	global_load_dwordx2 v[19:20], v2, s[18:19]
	s_add_i32 s22, s23, -8
.LBB2_348:                              ;   in Loop: Header=BB2_308 Depth=2
	s_add_u32 s18, s4, 8
	s_addc_u32 s19, s5, 0
	s_cmp_gt_u32 s22, 7
	s_cbranch_scc1 .LBB2_352
; %bb.349:                              ;   in Loop: Header=BB2_308 Depth=2
	s_cmp_eq_u32 s22, 0
	s_cbranch_scc1 .LBB2_353
; %bb.350:                              ;   in Loop: Header=BB2_308 Depth=2
	v_mov_b32_e32 v21, 0
	s_mov_b64 s[18:19], 0
	v_mov_b32_e32 v22, 0
	s_mov_b64 s[20:21], 0
.LBB2_351:                              ;   Parent Loop BB2_279 Depth=1
                                        ;     Parent Loop BB2_308 Depth=2
                                        ; =>    This Inner Loop Header: Depth=3
	s_add_u32 s24, s4, s20
	s_addc_u32 s25, s5, s21
	global_load_ubyte v1, v2, s[24:25]
	s_add_u32 s20, s20, 1
	s_addc_u32 s21, s21, 0
	s_waitcnt vmcnt(0)
	v_and_b32_e32 v1, 0xffff, v1
	v_lshlrev_b64 v[3:4], s18, v[1:2]
	s_add_u32 s18, s18, 8
	s_addc_u32 s19, s19, 0
	v_or_b32_e32 v21, v3, v21
	s_cmp_lg_u32 s22, s20
	v_or_b32_e32 v22, v4, v22
	s_cbranch_scc1 .LBB2_351
	s_branch .LBB2_354
.LBB2_352:                              ;   in Loop: Header=BB2_308 Depth=2
                                        ; implicit-def: $vgpr21_vgpr22
	s_mov_b32 s23, 0
	s_branch .LBB2_355
.LBB2_353:                              ;   in Loop: Header=BB2_308 Depth=2
	v_mov_b32_e32 v21, 0
	v_mov_b32_e32 v22, 0
.LBB2_354:                              ;   in Loop: Header=BB2_308 Depth=2
	s_mov_b64 s[18:19], s[4:5]
	s_mov_b32 s23, 0
	s_cbranch_execnz .LBB2_356
.LBB2_355:                              ;   in Loop: Header=BB2_308 Depth=2
	global_load_dwordx2 v[21:22], v2, s[4:5]
	s_add_i32 s23, s22, -8
.LBB2_356:                              ;   in Loop: Header=BB2_308 Depth=2
	s_cmp_gt_u32 s23, 7
	s_cbranch_scc1 .LBB2_360
; %bb.357:                              ;   in Loop: Header=BB2_308 Depth=2
	s_cmp_eq_u32 s23, 0
	s_cbranch_scc1 .LBB2_361
; %bb.358:                              ;   in Loop: Header=BB2_308 Depth=2
	v_mov_b32_e32 v23, 0
	s_mov_b64 s[4:5], 0
	v_mov_b32_e32 v24, 0
	s_mov_b64 s[20:21], s[18:19]
.LBB2_359:                              ;   Parent Loop BB2_279 Depth=1
                                        ;     Parent Loop BB2_308 Depth=2
                                        ; =>    This Inner Loop Header: Depth=3
	global_load_ubyte v1, v2, s[20:21]
	s_add_i32 s23, s23, -1
	s_waitcnt vmcnt(0)
	v_and_b32_e32 v1, 0xffff, v1
	v_lshlrev_b64 v[3:4], s4, v[1:2]
	s_add_u32 s4, s4, 8
	s_addc_u32 s5, s5, 0
	s_add_u32 s20, s20, 1
	s_addc_u32 s21, s21, 0
	v_or_b32_e32 v23, v3, v23
	s_cmp_lg_u32 s23, 0
	v_or_b32_e32 v24, v4, v24
	s_cbranch_scc1 .LBB2_359
	s_branch .LBB2_362
.LBB2_360:                              ;   in Loop: Header=BB2_308 Depth=2
	s_branch .LBB2_363
.LBB2_361:                              ;   in Loop: Header=BB2_308 Depth=2
	v_mov_b32_e32 v23, 0
	v_mov_b32_e32 v24, 0
.LBB2_362:                              ;   in Loop: Header=BB2_308 Depth=2
	s_cbranch_execnz .LBB2_364
.LBB2_363:                              ;   in Loop: Header=BB2_308 Depth=2
	global_load_dwordx2 v[23:24], v2, s[18:19]
.LBB2_364:                              ;   in Loop: Header=BB2_308 Depth=2
	v_readfirstlane_b32 s4, v38
	v_mov_b32_e32 v3, 0
	v_mov_b32_e32 v4, 0
	v_cmp_eq_u32_e64 s[4:5], s4, v38
	s_and_saveexec_b64 s[18:19], s[4:5]
	s_cbranch_execz .LBB2_370
; %bb.365:                              ;   in Loop: Header=BB2_308 Depth=2
	global_load_dwordx2 v[27:28], v2, s[34:35] offset:24 glc
	s_waitcnt vmcnt(0)
	buffer_wbinvl1_vol
	global_load_dwordx2 v[3:4], v2, s[34:35] offset:40
	global_load_dwordx2 v[25:26], v2, s[34:35]
	s_waitcnt vmcnt(1)
	v_and_b32_e32 v1, v3, v27
	v_and_b32_e32 v3, v4, v28
	v_mul_lo_u32 v3, v3, 24
	v_mul_hi_u32 v4, v1, 24
	v_mul_lo_u32 v1, v1, 24
	v_add_u32_e32 v4, v4, v3
	s_waitcnt vmcnt(0)
	v_add_co_u32_e32 v3, vcc, v25, v1
	v_addc_co_u32_e32 v4, vcc, v26, v4, vcc
	global_load_dwordx2 v[25:26], v[3:4], off glc
	s_waitcnt vmcnt(0)
	global_atomic_cmpswap_x2 v[3:4], v2, v[25:28], s[34:35] offset:24 glc
	s_waitcnt vmcnt(0)
	buffer_wbinvl1_vol
	v_cmp_ne_u64_e32 vcc, v[3:4], v[27:28]
	s_and_saveexec_b64 s[20:21], vcc
	s_cbranch_execz .LBB2_369
; %bb.366:                              ;   in Loop: Header=BB2_308 Depth=2
	s_mov_b64 s[22:23], 0
.LBB2_367:                              ;   Parent Loop BB2_279 Depth=1
                                        ;     Parent Loop BB2_308 Depth=2
                                        ; =>    This Inner Loop Header: Depth=3
	s_sleep 1
	global_load_dwordx2 v[25:26], v2, s[34:35] offset:40
	global_load_dwordx2 v[29:30], v2, s[34:35]
	v_mov_b32_e32 v28, v4
	v_mov_b32_e32 v27, v3
	s_waitcnt vmcnt(1)
	v_and_b32_e32 v1, v25, v27
	s_waitcnt vmcnt(0)
	v_mad_u64_u32 v[3:4], s[24:25], v1, 24, v[29:30]
	v_and_b32_e32 v25, v26, v28
	v_mov_b32_e32 v1, v4
	v_mad_u64_u32 v[25:26], s[24:25], v25, 24, v[1:2]
	v_mov_b32_e32 v4, v25
	global_load_dwordx2 v[25:26], v[3:4], off glc
	s_waitcnt vmcnt(0)
	global_atomic_cmpswap_x2 v[3:4], v2, v[25:28], s[34:35] offset:24 glc
	s_waitcnt vmcnt(0)
	buffer_wbinvl1_vol
	v_cmp_eq_u64_e32 vcc, v[3:4], v[27:28]
	s_or_b64 s[22:23], vcc, s[22:23]
	s_andn2_b64 exec, exec, s[22:23]
	s_cbranch_execnz .LBB2_367
; %bb.368:                              ;   in Loop: Header=BB2_308 Depth=2
	s_or_b64 exec, exec, s[22:23]
.LBB2_369:                              ;   in Loop: Header=BB2_308 Depth=2
	s_or_b64 exec, exec, s[20:21]
.LBB2_370:                              ;   in Loop: Header=BB2_308 Depth=2
	s_or_b64 exec, exec, s[18:19]
	global_load_dwordx2 v[29:30], v2, s[34:35] offset:40
	global_load_dwordx4 v[25:28], v2, s[34:35]
	v_readfirstlane_b32 s19, v4
	v_readfirstlane_b32 s18, v3
	s_mov_b64 s[20:21], exec
	s_waitcnt vmcnt(1)
	v_readfirstlane_b32 s22, v29
	v_readfirstlane_b32 s23, v30
	s_and_b64 s[22:23], s[22:23], s[18:19]
	s_mul_i32 s24, s23, 24
	s_mul_hi_u32 s25, s22, 24
	s_mul_i32 s37, s22, 24
	s_add_i32 s24, s25, s24
	v_mov_b32_e32 v1, s24
	s_waitcnt vmcnt(0)
	v_add_co_u32_e32 v29, vcc, s37, v25
	v_addc_co_u32_e32 v30, vcc, v26, v1, vcc
	s_and_saveexec_b64 s[24:25], s[4:5]
	s_cbranch_execz .LBB2_372
; %bb.371:                              ;   in Loop: Header=BB2_308 Depth=2
	v_mov_b32_e32 v3, s20
	v_mov_b32_e32 v4, s21
	global_store_dwordx4 v[29:30], v[3:6], off offset:8
.LBB2_372:                              ;   in Loop: Header=BB2_308 Depth=2
	s_or_b64 exec, exec, s[24:25]
	s_lshl_b64 s[20:21], s[22:23], 12
	v_mov_b32_e32 v1, s21
	v_add_co_u32_e32 v27, vcc, s20, v27
	v_addc_co_u32_e32 v28, vcc, v28, v1, vcc
	v_cmp_lt_u64_e64 vcc, s[14:15], 57
	v_and_b32_e32 v1, 2, v7
	s_lshl_b32 s20, s16, 2
	v_cndmask_b32_e32 v1, 0, v1, vcc
	s_add_i32 s20, s20, 28
	v_and_b32_e32 v3, 0xffffff1f, v9
	s_and_b32 s20, s20, 0x1e0
	v_or_b32_e32 v1, v3, v1
	v_or_b32_e32 v9, s20, v1
	v_readfirstlane_b32 s20, v27
	v_readfirstlane_b32 s21, v28
	s_nop 4
	global_store_dwordx4 v37, v[9:12], s[20:21]
	global_store_dwordx4 v37, v[13:16], s[20:21] offset:16
	global_store_dwordx4 v37, v[17:20], s[20:21] offset:32
	;; [unrolled: 1-line block ×3, first 2 shown]
	s_and_saveexec_b64 s[20:21], s[4:5]
	s_cbranch_execz .LBB2_380
; %bb.373:                              ;   in Loop: Header=BB2_308 Depth=2
	global_load_dwordx2 v[13:14], v2, s[34:35] offset:32 glc
	global_load_dwordx2 v[3:4], v2, s[34:35] offset:40
	v_mov_b32_e32 v11, s18
	v_mov_b32_e32 v12, s19
	s_waitcnt vmcnt(0)
	v_readfirstlane_b32 s22, v3
	v_readfirstlane_b32 s23, v4
	s_and_b64 s[22:23], s[22:23], s[18:19]
	s_mul_i32 s23, s23, 24
	s_mul_hi_u32 s24, s22, 24
	s_mul_i32 s22, s22, 24
	s_add_i32 s23, s24, s23
	v_mov_b32_e32 v1, s23
	v_add_co_u32_e32 v3, vcc, s22, v25
	v_addc_co_u32_e32 v4, vcc, v26, v1, vcc
	global_store_dwordx2 v[3:4], v[13:14], off
	s_waitcnt vmcnt(0)
	global_atomic_cmpswap_x2 v[11:12], v2, v[11:14], s[34:35] offset:32 glc
	s_waitcnt vmcnt(0)
	v_cmp_ne_u64_e32 vcc, v[11:12], v[13:14]
	s_and_saveexec_b64 s[22:23], vcc
	s_cbranch_execz .LBB2_376
; %bb.374:                              ;   in Loop: Header=BB2_308 Depth=2
	s_mov_b64 s[24:25], 0
.LBB2_375:                              ;   Parent Loop BB2_279 Depth=1
                                        ;     Parent Loop BB2_308 Depth=2
                                        ; =>    This Inner Loop Header: Depth=3
	s_sleep 1
	global_store_dwordx2 v[3:4], v[11:12], off
	v_mov_b32_e32 v9, s18
	v_mov_b32_e32 v10, s19
	s_waitcnt vmcnt(0)
	global_atomic_cmpswap_x2 v[9:10], v2, v[9:12], s[34:35] offset:32 glc
	s_waitcnt vmcnt(0)
	v_cmp_eq_u64_e32 vcc, v[9:10], v[11:12]
	v_mov_b32_e32 v12, v10
	s_or_b64 s[24:25], vcc, s[24:25]
	v_mov_b32_e32 v11, v9
	s_andn2_b64 exec, exec, s[24:25]
	s_cbranch_execnz .LBB2_375
.LBB2_376:                              ;   in Loop: Header=BB2_308 Depth=2
	s_or_b64 exec, exec, s[22:23]
	global_load_dwordx2 v[3:4], v2, s[34:35] offset:16
	s_mov_b64 s[24:25], exec
	v_mbcnt_lo_u32_b32 v1, s24, 0
	v_mbcnt_hi_u32_b32 v1, s25, v1
	v_cmp_eq_u32_e32 vcc, 0, v1
	s_and_saveexec_b64 s[22:23], vcc
	s_cbranch_execz .LBB2_378
; %bb.377:                              ;   in Loop: Header=BB2_308 Depth=2
	s_bcnt1_i32_b64 s24, s[24:25]
	v_mov_b32_e32 v1, s24
	s_waitcnt vmcnt(0)
	global_atomic_add_x2 v[3:4], v[1:2], off offset:8
.LBB2_378:                              ;   in Loop: Header=BB2_308 Depth=2
	s_or_b64 exec, exec, s[22:23]
	s_waitcnt vmcnt(0)
	global_load_dwordx2 v[9:10], v[3:4], off offset:16
	s_waitcnt vmcnt(0)
	v_cmp_eq_u64_e32 vcc, 0, v[9:10]
	s_cbranch_vccnz .LBB2_380
; %bb.379:                              ;   in Loop: Header=BB2_308 Depth=2
	global_load_dword v1, v[3:4], off offset:24
	s_waitcnt vmcnt(0)
	v_readfirstlane_b32 s22, v1
	s_and_b32 m0, s22, 0xffffff
	global_store_dwordx2 v[9:10], v[1:2], off
	s_sendmsg sendmsg(MSG_INTERRUPT)
.LBB2_380:                              ;   in Loop: Header=BB2_308 Depth=2
	s_or_b64 exec, exec, s[20:21]
	v_add_co_u32_e32 v3, vcc, v27, v37
	v_addc_co_u32_e32 v4, vcc, 0, v28, vcc
	s_branch .LBB2_384
.LBB2_381:                              ;   in Loop: Header=BB2_384 Depth=3
	s_or_b64 exec, exec, s[20:21]
	v_readfirstlane_b32 s20, v1
	s_cmp_eq_u32 s20, 0
	s_cbranch_scc1 .LBB2_383
; %bb.382:                              ;   in Loop: Header=BB2_384 Depth=3
	s_sleep 1
	s_cbranch_execnz .LBB2_384
	s_branch .LBB2_386
.LBB2_383:                              ;   in Loop: Header=BB2_308 Depth=2
	s_branch .LBB2_386
.LBB2_384:                              ;   Parent Loop BB2_279 Depth=1
                                        ;     Parent Loop BB2_308 Depth=2
                                        ; =>    This Inner Loop Header: Depth=3
	v_mov_b32_e32 v1, 1
	s_and_saveexec_b64 s[20:21], s[4:5]
	s_cbranch_execz .LBB2_381
; %bb.385:                              ;   in Loop: Header=BB2_384 Depth=3
	global_load_dword v1, v[29:30], off offset:20 glc
	s_waitcnt vmcnt(0)
	buffer_wbinvl1_vol
	v_and_b32_e32 v1, 1, v1
	s_branch .LBB2_381
.LBB2_386:                              ;   in Loop: Header=BB2_308 Depth=2
	global_load_dwordx2 v[9:10], v[3:4], off
	s_and_saveexec_b64 s[20:21], s[4:5]
	s_cbranch_execz .LBB2_307
; %bb.387:                              ;   in Loop: Header=BB2_308 Depth=2
	global_load_dwordx2 v[3:4], v2, s[34:35] offset:40
	global_load_dwordx2 v[15:16], v2, s[34:35] offset:24 glc
	global_load_dwordx2 v[11:12], v2, s[34:35]
	s_waitcnt vmcnt(2)
	v_readfirstlane_b32 s22, v3
	v_readfirstlane_b32 s23, v4
	s_add_u32 s24, s22, 1
	s_addc_u32 s25, s23, 0
	s_add_u32 s4, s24, s18
	s_addc_u32 s5, s25, s19
	s_cmp_eq_u64 s[4:5], 0
	s_cselect_b32 s5, s25, s5
	s_cselect_b32 s4, s24, s4
	s_and_b64 s[18:19], s[4:5], s[22:23]
	s_mul_i32 s19, s19, 24
	s_mul_hi_u32 s22, s18, 24
	s_mul_i32 s18, s18, 24
	s_add_i32 s19, s22, s19
	v_mov_b32_e32 v1, s19
	s_waitcnt vmcnt(0)
	v_add_co_u32_e32 v3, vcc, s18, v11
	v_addc_co_u32_e32 v4, vcc, v12, v1, vcc
	v_mov_b32_e32 v13, s4
	global_store_dwordx2 v[3:4], v[15:16], off
	v_mov_b32_e32 v14, s5
	s_waitcnt vmcnt(0)
	global_atomic_cmpswap_x2 v[13:14], v2, v[13:16], s[34:35] offset:24 glc
	s_waitcnt vmcnt(0)
	v_cmp_ne_u64_e32 vcc, v[13:14], v[15:16]
	s_and_b64 exec, exec, vcc
	s_cbranch_execz .LBB2_307
; %bb.388:                              ;   in Loop: Header=BB2_308 Depth=2
	s_mov_b64 s[18:19], 0
.LBB2_389:                              ;   Parent Loop BB2_279 Depth=1
                                        ;     Parent Loop BB2_308 Depth=2
                                        ; =>    This Inner Loop Header: Depth=3
	s_sleep 1
	global_store_dwordx2 v[3:4], v[13:14], off
	v_mov_b32_e32 v11, s4
	v_mov_b32_e32 v12, s5
	s_waitcnt vmcnt(0)
	global_atomic_cmpswap_x2 v[11:12], v2, v[11:14], s[34:35] offset:24 glc
	s_waitcnt vmcnt(0)
	v_cmp_eq_u64_e32 vcc, v[11:12], v[13:14]
	v_mov_b32_e32 v14, v12
	s_or_b64 s[18:19], vcc, s[18:19]
	v_mov_b32_e32 v13, v11
	s_andn2_b64 exec, exec, s[18:19]
	s_cbranch_execnz .LBB2_389
	s_branch .LBB2_307
.LBB2_390:                              ;   in Loop: Header=BB2_279 Depth=1
	s_branch .LBB2_419
.LBB2_391:                              ;   in Loop: Header=BB2_279 Depth=1
                                        ; implicit-def: $vgpr9_vgpr10
	s_cbranch_execz .LBB2_419
; %bb.392:                              ;   in Loop: Header=BB2_279 Depth=1
	v_readfirstlane_b32 s4, v38
	v_mov_b32_e32 v3, 0
	v_mov_b32_e32 v4, 0
	v_cmp_eq_u32_e64 s[4:5], s4, v38
	s_and_saveexec_b64 s[12:13], s[4:5]
	s_cbranch_execz .LBB2_398
; %bb.393:                              ;   in Loop: Header=BB2_279 Depth=1
	global_load_dwordx2 v[11:12], v2, s[34:35] offset:24 glc
	s_waitcnt vmcnt(0)
	buffer_wbinvl1_vol
	global_load_dwordx2 v[3:4], v2, s[34:35] offset:40
	global_load_dwordx2 v[9:10], v2, s[34:35]
	s_waitcnt vmcnt(1)
	v_and_b32_e32 v1, v3, v11
	v_and_b32_e32 v3, v4, v12
	v_mul_lo_u32 v3, v3, 24
	v_mul_hi_u32 v4, v1, 24
	v_mul_lo_u32 v1, v1, 24
	v_add_u32_e32 v4, v4, v3
	s_waitcnt vmcnt(0)
	v_add_co_u32_e32 v3, vcc, v9, v1
	v_addc_co_u32_e32 v4, vcc, v10, v4, vcc
	global_load_dwordx2 v[9:10], v[3:4], off glc
	s_waitcnt vmcnt(0)
	global_atomic_cmpswap_x2 v[3:4], v2, v[9:12], s[34:35] offset:24 glc
	s_waitcnt vmcnt(0)
	buffer_wbinvl1_vol
	v_cmp_ne_u64_e32 vcc, v[3:4], v[11:12]
	s_and_saveexec_b64 s[14:15], vcc
	s_cbranch_execz .LBB2_397
; %bb.394:                              ;   in Loop: Header=BB2_279 Depth=1
	s_mov_b64 s[16:17], 0
.LBB2_395:                              ;   Parent Loop BB2_279 Depth=1
                                        ; =>  This Inner Loop Header: Depth=2
	s_sleep 1
	global_load_dwordx2 v[9:10], v2, s[34:35] offset:40
	global_load_dwordx2 v[13:14], v2, s[34:35]
	v_mov_b32_e32 v12, v4
	v_mov_b32_e32 v11, v3
	s_waitcnt vmcnt(1)
	v_and_b32_e32 v1, v9, v11
	s_waitcnt vmcnt(0)
	v_mad_u64_u32 v[3:4], s[18:19], v1, 24, v[13:14]
	v_and_b32_e32 v9, v10, v12
	v_mov_b32_e32 v1, v4
	v_mad_u64_u32 v[9:10], s[18:19], v9, 24, v[1:2]
	v_mov_b32_e32 v4, v9
	global_load_dwordx2 v[9:10], v[3:4], off glc
	s_waitcnt vmcnt(0)
	global_atomic_cmpswap_x2 v[3:4], v2, v[9:12], s[34:35] offset:24 glc
	s_waitcnt vmcnt(0)
	buffer_wbinvl1_vol
	v_cmp_eq_u64_e32 vcc, v[3:4], v[11:12]
	s_or_b64 s[16:17], vcc, s[16:17]
	s_andn2_b64 exec, exec, s[16:17]
	s_cbranch_execnz .LBB2_395
; %bb.396:                              ;   in Loop: Header=BB2_279 Depth=1
	s_or_b64 exec, exec, s[16:17]
.LBB2_397:                              ;   in Loop: Header=BB2_279 Depth=1
	s_or_b64 exec, exec, s[14:15]
.LBB2_398:                              ;   in Loop: Header=BB2_279 Depth=1
	s_or_b64 exec, exec, s[12:13]
	global_load_dwordx2 v[9:10], v2, s[34:35] offset:40
	global_load_dwordx4 v[11:14], v2, s[34:35]
	v_readfirstlane_b32 s13, v4
	v_readfirstlane_b32 s12, v3
	s_mov_b64 s[14:15], exec
	s_waitcnt vmcnt(1)
	v_readfirstlane_b32 s16, v9
	v_readfirstlane_b32 s17, v10
	s_and_b64 s[16:17], s[16:17], s[12:13]
	s_mul_i32 s18, s17, 24
	s_mul_hi_u32 s19, s16, 24
	s_mul_i32 s20, s16, 24
	s_add_i32 s18, s19, s18
	v_mov_b32_e32 v1, s18
	s_waitcnt vmcnt(0)
	v_add_co_u32_e32 v15, vcc, s20, v11
	v_addc_co_u32_e32 v16, vcc, v12, v1, vcc
	s_and_saveexec_b64 s[18:19], s[4:5]
	s_cbranch_execz .LBB2_400
; %bb.399:                              ;   in Loop: Header=BB2_279 Depth=1
	v_mov_b32_e32 v3, s14
	v_mov_b32_e32 v4, s15
	global_store_dwordx4 v[15:16], v[3:6], off offset:8
.LBB2_400:                              ;   in Loop: Header=BB2_279 Depth=1
	s_or_b64 exec, exec, s[18:19]
	s_lshl_b64 s[14:15], s[16:17], 12
	v_mov_b32_e32 v1, s15
	v_add_co_u32_e32 v13, vcc, s14, v13
	v_addc_co_u32_e32 v14, vcc, v14, v1, vcc
	v_and_or_b32 v7, v7, s31, 32
	v_mov_b32_e32 v9, v2
	v_mov_b32_e32 v10, v2
	v_readfirstlane_b32 s14, v13
	v_readfirstlane_b32 s15, v14
	s_nop 4
	global_store_dwordx4 v37, v[7:10], s[14:15]
	s_nop 0
	v_mov_b32_e32 v7, s8
	v_mov_b32_e32 v8, s9
	;; [unrolled: 1-line block ×4, first 2 shown]
	global_store_dwordx4 v37, v[7:10], s[14:15] offset:16
	global_store_dwordx4 v37, v[7:10], s[14:15] offset:32
	global_store_dwordx4 v37, v[7:10], s[14:15] offset:48
	s_and_saveexec_b64 s[14:15], s[4:5]
	s_cbranch_execz .LBB2_408
; %bb.401:                              ;   in Loop: Header=BB2_279 Depth=1
	global_load_dwordx2 v[19:20], v2, s[34:35] offset:32 glc
	global_load_dwordx2 v[3:4], v2, s[34:35] offset:40
	v_mov_b32_e32 v17, s12
	v_mov_b32_e32 v18, s13
	s_waitcnt vmcnt(0)
	v_readfirstlane_b32 s16, v3
	v_readfirstlane_b32 s17, v4
	s_and_b64 s[16:17], s[16:17], s[12:13]
	s_mul_i32 s17, s17, 24
	s_mul_hi_u32 s18, s16, 24
	s_mul_i32 s16, s16, 24
	s_add_i32 s17, s18, s17
	v_mov_b32_e32 v1, s17
	v_add_co_u32_e32 v3, vcc, s16, v11
	v_addc_co_u32_e32 v4, vcc, v12, v1, vcc
	global_store_dwordx2 v[3:4], v[19:20], off
	s_waitcnt vmcnt(0)
	global_atomic_cmpswap_x2 v[9:10], v2, v[17:20], s[34:35] offset:32 glc
	s_waitcnt vmcnt(0)
	v_cmp_ne_u64_e32 vcc, v[9:10], v[19:20]
	s_and_saveexec_b64 s[16:17], vcc
	s_cbranch_execz .LBB2_404
; %bb.402:                              ;   in Loop: Header=BB2_279 Depth=1
	s_mov_b64 s[18:19], 0
.LBB2_403:                              ;   Parent Loop BB2_279 Depth=1
                                        ; =>  This Inner Loop Header: Depth=2
	s_sleep 1
	global_store_dwordx2 v[3:4], v[9:10], off
	v_mov_b32_e32 v7, s12
	v_mov_b32_e32 v8, s13
	s_waitcnt vmcnt(0)
	global_atomic_cmpswap_x2 v[7:8], v2, v[7:10], s[34:35] offset:32 glc
	s_waitcnt vmcnt(0)
	v_cmp_eq_u64_e32 vcc, v[7:8], v[9:10]
	v_mov_b32_e32 v10, v8
	s_or_b64 s[18:19], vcc, s[18:19]
	v_mov_b32_e32 v9, v7
	s_andn2_b64 exec, exec, s[18:19]
	s_cbranch_execnz .LBB2_403
.LBB2_404:                              ;   in Loop: Header=BB2_279 Depth=1
	s_or_b64 exec, exec, s[16:17]
	global_load_dwordx2 v[3:4], v2, s[34:35] offset:16
	s_mov_b64 s[18:19], exec
	v_mbcnt_lo_u32_b32 v1, s18, 0
	v_mbcnt_hi_u32_b32 v1, s19, v1
	v_cmp_eq_u32_e32 vcc, 0, v1
	s_and_saveexec_b64 s[16:17], vcc
	s_cbranch_execz .LBB2_406
; %bb.405:                              ;   in Loop: Header=BB2_279 Depth=1
	s_bcnt1_i32_b64 s18, s[18:19]
	v_mov_b32_e32 v1, s18
	s_waitcnt vmcnt(0)
	global_atomic_add_x2 v[3:4], v[1:2], off offset:8
.LBB2_406:                              ;   in Loop: Header=BB2_279 Depth=1
	s_or_b64 exec, exec, s[16:17]
	s_waitcnt vmcnt(0)
	global_load_dwordx2 v[7:8], v[3:4], off offset:16
	s_waitcnt vmcnt(0)
	v_cmp_eq_u64_e32 vcc, 0, v[7:8]
	s_cbranch_vccnz .LBB2_408
; %bb.407:                              ;   in Loop: Header=BB2_279 Depth=1
	global_load_dword v1, v[3:4], off offset:24
	s_waitcnt vmcnt(0)
	v_readfirstlane_b32 s16, v1
	s_and_b32 m0, s16, 0xffffff
	global_store_dwordx2 v[7:8], v[1:2], off
	s_sendmsg sendmsg(MSG_INTERRUPT)
.LBB2_408:                              ;   in Loop: Header=BB2_279 Depth=1
	s_or_b64 exec, exec, s[14:15]
	v_add_co_u32_e32 v3, vcc, v13, v37
	v_addc_co_u32_e32 v4, vcc, 0, v14, vcc
	s_branch .LBB2_412
.LBB2_409:                              ;   in Loop: Header=BB2_412 Depth=2
	s_or_b64 exec, exec, s[14:15]
	v_readfirstlane_b32 s14, v1
	s_cmp_eq_u32 s14, 0
	s_cbranch_scc1 .LBB2_411
; %bb.410:                              ;   in Loop: Header=BB2_412 Depth=2
	s_sleep 1
	s_cbranch_execnz .LBB2_412
	s_branch .LBB2_414
.LBB2_411:                              ;   in Loop: Header=BB2_279 Depth=1
	s_branch .LBB2_414
.LBB2_412:                              ;   Parent Loop BB2_279 Depth=1
                                        ; =>  This Inner Loop Header: Depth=2
	v_mov_b32_e32 v1, 1
	s_and_saveexec_b64 s[14:15], s[4:5]
	s_cbranch_execz .LBB2_409
; %bb.413:                              ;   in Loop: Header=BB2_412 Depth=2
	global_load_dword v1, v[15:16], off offset:20 glc
	s_waitcnt vmcnt(0)
	buffer_wbinvl1_vol
	v_and_b32_e32 v1, 1, v1
	s_branch .LBB2_409
.LBB2_414:                              ;   in Loop: Header=BB2_279 Depth=1
	global_load_dwordx2 v[9:10], v[3:4], off
	s_and_saveexec_b64 s[14:15], s[4:5]
	s_cbranch_execz .LBB2_418
; %bb.415:                              ;   in Loop: Header=BB2_279 Depth=1
	global_load_dwordx2 v[3:4], v2, s[34:35] offset:40
	global_load_dwordx2 v[15:16], v2, s[34:35] offset:24 glc
	global_load_dwordx2 v[7:8], v2, s[34:35]
	s_waitcnt vmcnt(2)
	v_readfirstlane_b32 s16, v3
	v_readfirstlane_b32 s17, v4
	s_add_u32 s18, s16, 1
	s_addc_u32 s19, s17, 0
	s_add_u32 s4, s18, s12
	s_addc_u32 s5, s19, s13
	s_cmp_eq_u64 s[4:5], 0
	s_cselect_b32 s5, s19, s5
	s_cselect_b32 s4, s18, s4
	s_and_b64 s[12:13], s[4:5], s[16:17]
	s_mul_i32 s13, s13, 24
	s_mul_hi_u32 s16, s12, 24
	s_mul_i32 s12, s12, 24
	s_add_i32 s13, s16, s13
	v_mov_b32_e32 v1, s13
	s_waitcnt vmcnt(0)
	v_add_co_u32_e32 v3, vcc, s12, v7
	v_addc_co_u32_e32 v4, vcc, v8, v1, vcc
	v_mov_b32_e32 v13, s4
	global_store_dwordx2 v[3:4], v[15:16], off
	v_mov_b32_e32 v14, s5
	s_waitcnt vmcnt(0)
	global_atomic_cmpswap_x2 v[13:14], v2, v[13:16], s[34:35] offset:24 glc
	s_waitcnt vmcnt(0)
	v_cmp_ne_u64_e32 vcc, v[13:14], v[15:16]
	s_and_b64 exec, exec, vcc
	s_cbranch_execz .LBB2_418
; %bb.416:                              ;   in Loop: Header=BB2_279 Depth=1
	s_mov_b64 s[12:13], 0
.LBB2_417:                              ;   Parent Loop BB2_279 Depth=1
                                        ; =>  This Inner Loop Header: Depth=2
	s_sleep 1
	global_store_dwordx2 v[3:4], v[13:14], off
	v_mov_b32_e32 v11, s4
	v_mov_b32_e32 v12, s5
	s_waitcnt vmcnt(0)
	global_atomic_cmpswap_x2 v[7:8], v2, v[11:14], s[34:35] offset:24 glc
	s_waitcnt vmcnt(0)
	v_cmp_eq_u64_e32 vcc, v[7:8], v[13:14]
	v_mov_b32_e32 v14, v8
	s_or_b64 s[12:13], vcc, s[12:13]
	v_mov_b32_e32 v13, v7
	s_andn2_b64 exec, exec, s[12:13]
	s_cbranch_execnz .LBB2_417
.LBB2_418:                              ;   in Loop: Header=BB2_279 Depth=1
	s_or_b64 exec, exec, s[14:15]
.LBB2_419:                              ;   in Loop: Header=BB2_279 Depth=1
	v_readfirstlane_b32 s4, v38
	v_mov_b32_e32 v3, 0
	v_mov_b32_e32 v4, 0
	v_cmp_eq_u32_e64 s[4:5], s4, v38
	s_and_saveexec_b64 s[12:13], s[4:5]
	s_cbranch_execz .LBB2_425
; %bb.420:                              ;   in Loop: Header=BB2_279 Depth=1
	global_load_dwordx2 v[13:14], v2, s[34:35] offset:24 glc
	s_waitcnt vmcnt(0)
	buffer_wbinvl1_vol
	global_load_dwordx2 v[3:4], v2, s[34:35] offset:40
	global_load_dwordx2 v[7:8], v2, s[34:35]
	s_waitcnt vmcnt(1)
	v_and_b32_e32 v1, v3, v13
	v_and_b32_e32 v3, v4, v14
	v_mul_lo_u32 v3, v3, 24
	v_mul_hi_u32 v4, v1, 24
	v_mul_lo_u32 v1, v1, 24
	v_add_u32_e32 v4, v4, v3
	s_waitcnt vmcnt(0)
	v_add_co_u32_e32 v3, vcc, v7, v1
	v_addc_co_u32_e32 v4, vcc, v8, v4, vcc
	global_load_dwordx2 v[11:12], v[3:4], off glc
	s_waitcnt vmcnt(0)
	global_atomic_cmpswap_x2 v[3:4], v2, v[11:14], s[34:35] offset:24 glc
	s_waitcnt vmcnt(0)
	buffer_wbinvl1_vol
	v_cmp_ne_u64_e32 vcc, v[3:4], v[13:14]
	s_and_saveexec_b64 s[14:15], vcc
	s_cbranch_execz .LBB2_424
; %bb.421:                              ;   in Loop: Header=BB2_279 Depth=1
	s_mov_b64 s[16:17], 0
.LBB2_422:                              ;   Parent Loop BB2_279 Depth=1
                                        ; =>  This Inner Loop Header: Depth=2
	s_sleep 1
	global_load_dwordx2 v[7:8], v2, s[34:35] offset:40
	global_load_dwordx2 v[11:12], v2, s[34:35]
	v_mov_b32_e32 v14, v4
	v_mov_b32_e32 v13, v3
	s_waitcnt vmcnt(1)
	v_and_b32_e32 v1, v7, v13
	s_waitcnt vmcnt(0)
	v_mad_u64_u32 v[3:4], s[18:19], v1, 24, v[11:12]
	v_and_b32_e32 v7, v8, v14
	v_mov_b32_e32 v1, v4
	v_mad_u64_u32 v[7:8], s[18:19], v7, 24, v[1:2]
	v_mov_b32_e32 v4, v7
	global_load_dwordx2 v[11:12], v[3:4], off glc
	s_waitcnt vmcnt(0)
	global_atomic_cmpswap_x2 v[3:4], v2, v[11:14], s[34:35] offset:24 glc
	s_waitcnt vmcnt(0)
	buffer_wbinvl1_vol
	v_cmp_eq_u64_e32 vcc, v[3:4], v[13:14]
	s_or_b64 s[16:17], vcc, s[16:17]
	s_andn2_b64 exec, exec, s[16:17]
	s_cbranch_execnz .LBB2_422
; %bb.423:                              ;   in Loop: Header=BB2_279 Depth=1
	s_or_b64 exec, exec, s[16:17]
.LBB2_424:                              ;   in Loop: Header=BB2_279 Depth=1
	s_or_b64 exec, exec, s[14:15]
.LBB2_425:                              ;   in Loop: Header=BB2_279 Depth=1
	s_or_b64 exec, exec, s[12:13]
	global_load_dwordx2 v[7:8], v2, s[34:35] offset:40
	global_load_dwordx4 v[13:16], v2, s[34:35]
	v_readfirstlane_b32 s13, v4
	v_readfirstlane_b32 s12, v3
	s_mov_b64 s[14:15], exec
	s_waitcnt vmcnt(1)
	v_readfirstlane_b32 s16, v7
	v_readfirstlane_b32 s17, v8
	s_and_b64 s[16:17], s[16:17], s[12:13]
	s_mul_i32 s18, s17, 24
	s_mul_hi_u32 s19, s16, 24
	s_mul_i32 s20, s16, 24
	s_add_i32 s18, s19, s18
	v_mov_b32_e32 v1, s18
	s_waitcnt vmcnt(0)
	v_add_co_u32_e32 v17, vcc, s20, v13
	v_addc_co_u32_e32 v18, vcc, v14, v1, vcc
	s_and_saveexec_b64 s[18:19], s[4:5]
	s_cbranch_execz .LBB2_427
; %bb.426:                              ;   in Loop: Header=BB2_279 Depth=1
	v_mov_b32_e32 v3, s14
	v_mov_b32_e32 v4, s15
	global_store_dwordx4 v[17:18], v[3:6], off offset:8
.LBB2_427:                              ;   in Loop: Header=BB2_279 Depth=1
	s_or_b64 exec, exec, s[18:19]
	s_lshl_b64 s[14:15], s[16:17], 12
	v_mov_b32_e32 v1, s15
	v_add_co_u32_e32 v3, vcc, s14, v15
	v_addc_co_u32_e32 v1, vcc, v16, v1, vcc
	v_and_or_b32 v9, v9, s33, 34
	v_mov_b32_e32 v11, s36
	v_mov_b32_e32 v12, v2
	v_readfirstlane_b32 s14, v3
	v_readfirstlane_b32 s15, v1
	s_nop 4
	global_store_dwordx4 v37, v[9:12], s[14:15]
	v_mov_b32_e32 v7, s8
	v_mov_b32_e32 v8, s9
	;; [unrolled: 1-line block ×4, first 2 shown]
	global_store_dwordx4 v37, v[7:10], s[14:15] offset:16
	global_store_dwordx4 v37, v[7:10], s[14:15] offset:32
	;; [unrolled: 1-line block ×3, first 2 shown]
	s_and_saveexec_b64 s[14:15], s[4:5]
	s_cbranch_execz .LBB2_435
; %bb.428:                              ;   in Loop: Header=BB2_279 Depth=1
	global_load_dwordx2 v[11:12], v2, s[34:35] offset:32 glc
	global_load_dwordx2 v[3:4], v2, s[34:35] offset:40
	v_mov_b32_e32 v9, s12
	v_mov_b32_e32 v10, s13
	s_waitcnt vmcnt(0)
	v_readfirstlane_b32 s16, v3
	v_readfirstlane_b32 s17, v4
	s_and_b64 s[16:17], s[16:17], s[12:13]
	s_mul_i32 s17, s17, 24
	s_mul_hi_u32 s18, s16, 24
	s_mul_i32 s16, s16, 24
	s_add_i32 s17, s18, s17
	v_mov_b32_e32 v1, s17
	v_add_co_u32_e32 v3, vcc, s16, v13
	v_addc_co_u32_e32 v4, vcc, v14, v1, vcc
	global_store_dwordx2 v[3:4], v[11:12], off
	s_waitcnt vmcnt(0)
	global_atomic_cmpswap_x2 v[9:10], v2, v[9:12], s[34:35] offset:32 glc
	s_waitcnt vmcnt(0)
	v_cmp_ne_u64_e32 vcc, v[9:10], v[11:12]
	s_and_saveexec_b64 s[16:17], vcc
	s_cbranch_execz .LBB2_431
; %bb.429:                              ;   in Loop: Header=BB2_279 Depth=1
	s_mov_b64 s[18:19], 0
.LBB2_430:                              ;   Parent Loop BB2_279 Depth=1
                                        ; =>  This Inner Loop Header: Depth=2
	s_sleep 1
	global_store_dwordx2 v[3:4], v[9:10], off
	v_mov_b32_e32 v7, s12
	v_mov_b32_e32 v8, s13
	s_waitcnt vmcnt(0)
	global_atomic_cmpswap_x2 v[7:8], v2, v[7:10], s[34:35] offset:32 glc
	s_waitcnt vmcnt(0)
	v_cmp_eq_u64_e32 vcc, v[7:8], v[9:10]
	v_mov_b32_e32 v10, v8
	s_or_b64 s[18:19], vcc, s[18:19]
	v_mov_b32_e32 v9, v7
	s_andn2_b64 exec, exec, s[18:19]
	s_cbranch_execnz .LBB2_430
.LBB2_431:                              ;   in Loop: Header=BB2_279 Depth=1
	s_or_b64 exec, exec, s[16:17]
	global_load_dwordx2 v[3:4], v2, s[34:35] offset:16
	s_mov_b64 s[18:19], exec
	v_mbcnt_lo_u32_b32 v1, s18, 0
	v_mbcnt_hi_u32_b32 v1, s19, v1
	v_cmp_eq_u32_e32 vcc, 0, v1
	s_and_saveexec_b64 s[16:17], vcc
	s_cbranch_execz .LBB2_433
; %bb.432:                              ;   in Loop: Header=BB2_279 Depth=1
	s_bcnt1_i32_b64 s18, s[18:19]
	v_mov_b32_e32 v1, s18
	s_waitcnt vmcnt(0)
	global_atomic_add_x2 v[3:4], v[1:2], off offset:8
.LBB2_433:                              ;   in Loop: Header=BB2_279 Depth=1
	s_or_b64 exec, exec, s[16:17]
	s_waitcnt vmcnt(0)
	global_load_dwordx2 v[7:8], v[3:4], off offset:16
	s_waitcnt vmcnt(0)
	v_cmp_eq_u64_e32 vcc, 0, v[7:8]
	s_cbranch_vccnz .LBB2_435
; %bb.434:                              ;   in Loop: Header=BB2_279 Depth=1
	global_load_dword v1, v[3:4], off offset:24
	s_waitcnt vmcnt(0)
	v_readfirstlane_b32 s16, v1
	s_and_b32 m0, s16, 0xffffff
	global_store_dwordx2 v[7:8], v[1:2], off
	s_sendmsg sendmsg(MSG_INTERRUPT)
.LBB2_435:                              ;   in Loop: Header=BB2_279 Depth=1
	s_or_b64 exec, exec, s[14:15]
	s_branch .LBB2_439
.LBB2_436:                              ;   in Loop: Header=BB2_439 Depth=2
	s_or_b64 exec, exec, s[14:15]
	v_readfirstlane_b32 s14, v1
	s_cmp_eq_u32 s14, 0
	s_cbranch_scc1 .LBB2_438
; %bb.437:                              ;   in Loop: Header=BB2_439 Depth=2
	s_sleep 1
	s_cbranch_execnz .LBB2_439
	s_branch .LBB2_441
.LBB2_438:                              ;   in Loop: Header=BB2_279 Depth=1
	s_branch .LBB2_441
.LBB2_439:                              ;   Parent Loop BB2_279 Depth=1
                                        ; =>  This Inner Loop Header: Depth=2
	v_mov_b32_e32 v1, 1
	s_and_saveexec_b64 s[14:15], s[4:5]
	s_cbranch_execz .LBB2_436
; %bb.440:                              ;   in Loop: Header=BB2_439 Depth=2
	global_load_dword v1, v[17:18], off offset:20 glc
	s_waitcnt vmcnt(0)
	buffer_wbinvl1_vol
	v_and_b32_e32 v1, 1, v1
	s_branch .LBB2_436
.LBB2_441:                              ;   in Loop: Header=BB2_279 Depth=1
	s_and_saveexec_b64 s[14:15], s[4:5]
	s_cbranch_execz .LBB2_278
; %bb.442:                              ;   in Loop: Header=BB2_279 Depth=1
	global_load_dwordx2 v[3:4], v2, s[34:35] offset:40
	global_load_dwordx2 v[11:12], v2, s[34:35] offset:24 glc
	global_load_dwordx2 v[7:8], v2, s[34:35]
	s_waitcnt vmcnt(2)
	v_readfirstlane_b32 s16, v3
	v_readfirstlane_b32 s17, v4
	s_add_u32 s18, s16, 1
	s_addc_u32 s19, s17, 0
	s_add_u32 s4, s18, s12
	s_addc_u32 s5, s19, s13
	s_cmp_eq_u64 s[4:5], 0
	s_cselect_b32 s5, s19, s5
	s_cselect_b32 s4, s18, s4
	s_and_b64 s[12:13], s[4:5], s[16:17]
	s_mul_i32 s13, s13, 24
	s_mul_hi_u32 s16, s12, 24
	s_mul_i32 s12, s12, 24
	s_add_i32 s13, s16, s13
	v_mov_b32_e32 v1, s13
	s_waitcnt vmcnt(0)
	v_add_co_u32_e32 v3, vcc, s12, v7
	v_addc_co_u32_e32 v4, vcc, v8, v1, vcc
	v_mov_b32_e32 v9, s4
	global_store_dwordx2 v[3:4], v[11:12], off
	v_mov_b32_e32 v10, s5
	s_waitcnt vmcnt(0)
	global_atomic_cmpswap_x2 v[9:10], v2, v[9:12], s[34:35] offset:24 glc
	s_waitcnt vmcnt(0)
	v_cmp_ne_u64_e32 vcc, v[9:10], v[11:12]
	s_and_b64 exec, exec, vcc
	s_cbranch_execz .LBB2_278
; %bb.443:                              ;   in Loop: Header=BB2_279 Depth=1
	s_mov_b64 s[12:13], 0
.LBB2_444:                              ;   Parent Loop BB2_279 Depth=1
                                        ; =>  This Inner Loop Header: Depth=2
	s_sleep 1
	global_store_dwordx2 v[3:4], v[9:10], off
	v_mov_b32_e32 v7, s4
	v_mov_b32_e32 v8, s5
	s_waitcnt vmcnt(0)
	global_atomic_cmpswap_x2 v[7:8], v2, v[7:10], s[34:35] offset:24 glc
	s_waitcnt vmcnt(0)
	v_cmp_eq_u64_e32 vcc, v[7:8], v[9:10]
	v_mov_b32_e32 v10, v8
	s_or_b64 s[12:13], vcc, s[12:13]
	v_mov_b32_e32 v9, v7
	s_andn2_b64 exec, exec, s[12:13]
	s_cbranch_execnz .LBB2_444
	s_branch .LBB2_278
.LBB2_445:
	s_load_dwordx4 s[8:11], s[26:27], 0x0
	s_load_dwordx2 s[6:7], s[26:27], 0x10
	s_cmp_lt_i32 s28, 1
	s_cbranch_scc1 .LBB2_1182
; %bb.446:
	s_add_i32 s31, s29, s28
	s_getpc_b64 s[4:5]
	s_add_u32 s4, s4, .str.1@rel32@lo+4
	s_addc_u32 s5, s5, .str.1@rel32@hi+12
	s_cmp_lg_u64 s[4:5], 0
	s_cselect_b64 s[16:17], -1, 0
	s_getpc_b64 s[4:5]
	s_add_u32 s4, s4, .str.2@rel32@lo+4
	s_addc_u32 s5, s5, .str.2@rel32@hi+12
	s_cmp_lg_u64 s[4:5], 0
	s_cselect_b64 s[18:19], -1, 0
	s_getpc_b64 s[4:5]
	s_add_u32 s4, s4, .str.5@rel32@lo+4
	s_addc_u32 s5, s5, .str.5@rel32@hi+12
	s_cmp_lg_u64 s[4:5], 0
	s_mov_b32 s12, 0
	s_cselect_b64 s[20:21], -1, 0
	v_mov_b32_e32 v2, 0
	s_mov_b32 s13, s12
	s_mov_b32 s14, s12
	;; [unrolled: 1-line block ×3, first 2 shown]
	s_movk_i32 s33, 0xff1f
	s_movk_i32 s48, 0xff1d
	v_mov_b32_e32 v5, 2
	s_waitcnt vmcnt(0)
	v_mov_b32_e32 v6, 1
	v_mov_b32_e32 v0, 33
	s_mov_b32 s22, s29
	s_branch .LBB2_448
.LBB2_447:                              ;   in Loop: Header=BB2_448 Depth=1
	s_or_b64 exec, exec, s[36:37]
	s_cmp_ge_i32 s22, s31
	s_cbranch_scc1 .LBB2_1182
.LBB2_448:                              ; =>This Loop Header: Depth=1
                                        ;     Child Loop BB2_451 Depth 2
                                        ;     Child Loop BB2_459 Depth 2
	;; [unrolled: 1-line block ×9, first 2 shown]
                                        ;       Child Loop BB2_480 Depth 3
                                        ;       Child Loop BB2_488 Depth 3
	;; [unrolled: 1-line block ×11, first 2 shown]
                                        ;     Child Loop BB2_591 Depth 2
                                        ;     Child Loop BB2_599 Depth 2
	;; [unrolled: 1-line block ×13, first 2 shown]
                                        ;       Child Loop BB2_646 Depth 3
                                        ;       Child Loop BB2_654 Depth 3
	;; [unrolled: 1-line block ×11, first 2 shown]
                                        ;     Child Loop BB2_756 Depth 2
                                        ;     Child Loop BB2_848 Depth 2
	;; [unrolled: 1-line block ×6, first 2 shown]
                                        ;       Child Loop BB2_764 Depth 3
                                        ;       Child Loop BB2_772 Depth 3
	;; [unrolled: 1-line block ×11, first 2 shown]
                                        ;     Child Loop BB2_875 Depth 2
                                        ;     Child Loop BB2_883 Depth 2
	;; [unrolled: 1-line block ×13, first 2 shown]
                                        ;       Child Loop BB2_930 Depth 3
                                        ;       Child Loop BB2_938 Depth 3
	;; [unrolled: 1-line block ×11, first 2 shown]
                                        ;     Child Loop BB2_1040 Depth 2
                                        ;     Child Loop BB2_1132 Depth 2
	;; [unrolled: 1-line block ×6, first 2 shown]
                                        ;       Child Loop BB2_1048 Depth 3
                                        ;       Child Loop BB2_1056 Depth 3
	;; [unrolled: 1-line block ×11, first 2 shown]
                                        ;     Child Loop BB2_1159 Depth 2
                                        ;     Child Loop BB2_1167 Depth 2
	;; [unrolled: 1-line block ×4, first 2 shown]
	s_ashr_i32 s23, s22, 31
	s_lshl_b64 s[4:5], s[22:23], 2
	s_waitcnt lgkmcnt(0)
	s_add_u32 s24, s8, s4
	s_addc_u32 s25, s9, s5
	s_add_u32 s4, s10, s4
	s_addc_u32 s5, s11, s5
	global_load_dword v1, v2, s[24:25] offset:4
	global_load_dword v7, v2, s[4:5] offset:4
	v_readfirstlane_b32 s4, v38
	v_mov_b32_e32 v3, 0
	v_mov_b32_e32 v4, 0
	v_cmp_eq_u32_e64 s[4:5], s4, v38
	s_waitcnt vmcnt(1)
	v_readfirstlane_b32 s29, v1
	s_waitcnt vmcnt(0)
	v_readfirstlane_b32 s23, v7
	s_and_saveexec_b64 s[24:25], s[4:5]
	s_cbranch_execz .LBB2_454
; %bb.449:                              ;   in Loop: Header=BB2_448 Depth=1
	global_load_dwordx2 v[9:10], v2, s[34:35] offset:24 glc
	s_waitcnt vmcnt(0)
	buffer_wbinvl1_vol
	global_load_dwordx2 v[3:4], v2, s[34:35] offset:40
	global_load_dwordx2 v[7:8], v2, s[34:35]
	s_waitcnt vmcnt(1)
	v_and_b32_e32 v1, v3, v9
	v_and_b32_e32 v3, v4, v10
	v_mul_lo_u32 v3, v3, 24
	v_mul_hi_u32 v4, v1, 24
	v_mul_lo_u32 v1, v1, 24
	v_add_u32_e32 v4, v4, v3
	s_waitcnt vmcnt(0)
	v_add_co_u32_e32 v3, vcc, v7, v1
	v_addc_co_u32_e32 v4, vcc, v8, v4, vcc
	global_load_dwordx2 v[7:8], v[3:4], off glc
	s_waitcnt vmcnt(0)
	global_atomic_cmpswap_x2 v[3:4], v2, v[7:10], s[34:35] offset:24 glc
	s_waitcnt vmcnt(0)
	buffer_wbinvl1_vol
	v_cmp_ne_u64_e32 vcc, v[3:4], v[9:10]
	s_and_saveexec_b64 s[36:37], vcc
	s_cbranch_execz .LBB2_453
; %bb.450:                              ;   in Loop: Header=BB2_448 Depth=1
	s_mov_b64 s[38:39], 0
.LBB2_451:                              ;   Parent Loop BB2_448 Depth=1
                                        ; =>  This Inner Loop Header: Depth=2
	s_sleep 1
	global_load_dwordx2 v[7:8], v2, s[34:35] offset:40
	global_load_dwordx2 v[11:12], v2, s[34:35]
	v_mov_b32_e32 v10, v4
	v_mov_b32_e32 v9, v3
	s_waitcnt vmcnt(1)
	v_and_b32_e32 v1, v7, v9
	s_waitcnt vmcnt(0)
	v_mad_u64_u32 v[3:4], s[40:41], v1, 24, v[11:12]
	v_and_b32_e32 v7, v8, v10
	v_mov_b32_e32 v1, v4
	v_mad_u64_u32 v[7:8], s[40:41], v7, 24, v[1:2]
	v_mov_b32_e32 v4, v7
	global_load_dwordx2 v[7:8], v[3:4], off glc
	s_waitcnt vmcnt(0)
	global_atomic_cmpswap_x2 v[3:4], v2, v[7:10], s[34:35] offset:24 glc
	s_waitcnt vmcnt(0)
	buffer_wbinvl1_vol
	v_cmp_eq_u64_e32 vcc, v[3:4], v[9:10]
	s_or_b64 s[38:39], vcc, s[38:39]
	s_andn2_b64 exec, exec, s[38:39]
	s_cbranch_execnz .LBB2_451
; %bb.452:                              ;   in Loop: Header=BB2_448 Depth=1
	s_or_b64 exec, exec, s[38:39]
.LBB2_453:                              ;   in Loop: Header=BB2_448 Depth=1
	s_or_b64 exec, exec, s[36:37]
.LBB2_454:                              ;   in Loop: Header=BB2_448 Depth=1
	s_or_b64 exec, exec, s[24:25]
	global_load_dwordx2 v[11:12], v2, s[34:35] offset:40
	global_load_dwordx4 v[7:10], v2, s[34:35]
	v_readfirstlane_b32 s25, v4
	v_readfirstlane_b32 s24, v3
	s_mov_b64 s[36:37], exec
	s_waitcnt vmcnt(1)
	v_readfirstlane_b32 s38, v11
	v_readfirstlane_b32 s39, v12
	s_and_b64 s[38:39], s[38:39], s[24:25]
	s_mul_i32 s40, s39, 24
	s_mul_hi_u32 s41, s38, 24
	s_mul_i32 s42, s38, 24
	s_add_i32 s40, s41, s40
	v_mov_b32_e32 v1, s40
	s_waitcnt vmcnt(0)
	v_add_co_u32_e32 v11, vcc, s42, v7
	v_addc_co_u32_e32 v12, vcc, v8, v1, vcc
	s_and_saveexec_b64 s[40:41], s[4:5]
	s_cbranch_execz .LBB2_456
; %bb.455:                              ;   in Loop: Header=BB2_448 Depth=1
	v_mov_b32_e32 v3, s36
	v_mov_b32_e32 v4, s37
	global_store_dwordx4 v[11:12], v[3:6], off offset:8
.LBB2_456:                              ;   in Loop: Header=BB2_448 Depth=1
	s_or_b64 exec, exec, s[40:41]
	s_lshl_b64 s[36:37], s[38:39], 12
	v_mov_b32_e32 v1, s37
	v_add_co_u32_e32 v13, vcc, s36, v9
	v_addc_co_u32_e32 v14, vcc, v10, v1, vcc
	v_mov_b32_e32 v18, s15
	v_mov_b32_e32 v1, v2
	;; [unrolled: 1-line block ×3, first 2 shown]
	v_readfirstlane_b32 s36, v13
	v_readfirstlane_b32 s37, v14
	v_mov_b32_e32 v17, s14
	v_mov_b32_e32 v16, s13
	;; [unrolled: 1-line block ×3, first 2 shown]
	s_nop 1
	global_store_dwordx4 v37, v[0:3], s[36:37]
	global_store_dwordx4 v37, v[15:18], s[36:37] offset:16
	global_store_dwordx4 v37, v[15:18], s[36:37] offset:32
	;; [unrolled: 1-line block ×3, first 2 shown]
	s_and_saveexec_b64 s[36:37], s[4:5]
	s_cbranch_execz .LBB2_464
; %bb.457:                              ;   in Loop: Header=BB2_448 Depth=1
	global_load_dwordx2 v[17:18], v2, s[34:35] offset:32 glc
	global_load_dwordx2 v[3:4], v2, s[34:35] offset:40
	v_mov_b32_e32 v15, s24
	v_mov_b32_e32 v16, s25
	s_waitcnt vmcnt(0)
	v_readfirstlane_b32 s38, v3
	v_readfirstlane_b32 s39, v4
	s_and_b64 s[38:39], s[38:39], s[24:25]
	s_mul_i32 s39, s39, 24
	s_mul_hi_u32 s40, s38, 24
	s_mul_i32 s38, s38, 24
	s_add_i32 s39, s40, s39
	v_mov_b32_e32 v1, s39
	v_add_co_u32_e32 v3, vcc, s38, v7
	v_addc_co_u32_e32 v4, vcc, v8, v1, vcc
	global_store_dwordx2 v[3:4], v[17:18], off
	s_waitcnt vmcnt(0)
	global_atomic_cmpswap_x2 v[9:10], v2, v[15:18], s[34:35] offset:32 glc
	s_waitcnt vmcnt(0)
	v_cmp_ne_u64_e32 vcc, v[9:10], v[17:18]
	s_and_saveexec_b64 s[38:39], vcc
	s_cbranch_execz .LBB2_460
; %bb.458:                              ;   in Loop: Header=BB2_448 Depth=1
	s_mov_b64 s[40:41], 0
.LBB2_459:                              ;   Parent Loop BB2_448 Depth=1
                                        ; =>  This Inner Loop Header: Depth=2
	s_sleep 1
	global_store_dwordx2 v[3:4], v[9:10], off
	v_mov_b32_e32 v7, s24
	v_mov_b32_e32 v8, s25
	s_waitcnt vmcnt(0)
	global_atomic_cmpswap_x2 v[7:8], v2, v[7:10], s[34:35] offset:32 glc
	s_waitcnt vmcnt(0)
	v_cmp_eq_u64_e32 vcc, v[7:8], v[9:10]
	v_mov_b32_e32 v10, v8
	s_or_b64 s[40:41], vcc, s[40:41]
	v_mov_b32_e32 v9, v7
	s_andn2_b64 exec, exec, s[40:41]
	s_cbranch_execnz .LBB2_459
.LBB2_460:                              ;   in Loop: Header=BB2_448 Depth=1
	s_or_b64 exec, exec, s[38:39]
	global_load_dwordx2 v[3:4], v2, s[34:35] offset:16
	s_mov_b64 s[40:41], exec
	v_mbcnt_lo_u32_b32 v1, s40, 0
	v_mbcnt_hi_u32_b32 v1, s41, v1
	v_cmp_eq_u32_e32 vcc, 0, v1
	s_and_saveexec_b64 s[38:39], vcc
	s_cbranch_execz .LBB2_462
; %bb.461:                              ;   in Loop: Header=BB2_448 Depth=1
	s_bcnt1_i32_b64 s40, s[40:41]
	v_mov_b32_e32 v1, s40
	s_waitcnt vmcnt(0)
	global_atomic_add_x2 v[3:4], v[1:2], off offset:8
.LBB2_462:                              ;   in Loop: Header=BB2_448 Depth=1
	s_or_b64 exec, exec, s[38:39]
	s_waitcnt vmcnt(0)
	global_load_dwordx2 v[7:8], v[3:4], off offset:16
	s_waitcnt vmcnt(0)
	v_cmp_eq_u64_e32 vcc, 0, v[7:8]
	s_cbranch_vccnz .LBB2_464
; %bb.463:                              ;   in Loop: Header=BB2_448 Depth=1
	global_load_dword v1, v[3:4], off offset:24
	s_waitcnt vmcnt(0)
	v_readfirstlane_b32 s38, v1
	s_and_b32 m0, s38, 0xffffff
	global_store_dwordx2 v[7:8], v[1:2], off
	s_sendmsg sendmsg(MSG_INTERRUPT)
.LBB2_464:                              ;   in Loop: Header=BB2_448 Depth=1
	s_or_b64 exec, exec, s[36:37]
	v_add_co_u32_e32 v3, vcc, v13, v37
	v_addc_co_u32_e32 v4, vcc, 0, v14, vcc
	s_branch .LBB2_468
.LBB2_465:                              ;   in Loop: Header=BB2_468 Depth=2
	s_or_b64 exec, exec, s[36:37]
	v_readfirstlane_b32 s36, v1
	s_cmp_eq_u32 s36, 0
	s_cbranch_scc1 .LBB2_467
; %bb.466:                              ;   in Loop: Header=BB2_468 Depth=2
	s_sleep 1
	s_cbranch_execnz .LBB2_468
	s_branch .LBB2_470
.LBB2_467:                              ;   in Loop: Header=BB2_448 Depth=1
	s_branch .LBB2_470
.LBB2_468:                              ;   Parent Loop BB2_448 Depth=1
                                        ; =>  This Inner Loop Header: Depth=2
	v_mov_b32_e32 v1, 1
	s_and_saveexec_b64 s[36:37], s[4:5]
	s_cbranch_execz .LBB2_465
; %bb.469:                              ;   in Loop: Header=BB2_468 Depth=2
	global_load_dword v1, v[11:12], off offset:20 glc
	s_waitcnt vmcnt(0)
	buffer_wbinvl1_vol
	v_and_b32_e32 v1, 1, v1
	s_branch .LBB2_465
.LBB2_470:                              ;   in Loop: Header=BB2_448 Depth=1
	global_load_dwordx2 v[7:8], v[3:4], off
	s_and_saveexec_b64 s[36:37], s[4:5]
	s_cbranch_execz .LBB2_474
; %bb.471:                              ;   in Loop: Header=BB2_448 Depth=1
	global_load_dwordx2 v[3:4], v2, s[34:35] offset:40
	global_load_dwordx2 v[13:14], v2, s[34:35] offset:24 glc
	global_load_dwordx2 v[9:10], v2, s[34:35]
	s_waitcnt vmcnt(2)
	v_readfirstlane_b32 s38, v3
	v_readfirstlane_b32 s39, v4
	s_add_u32 s40, s38, 1
	s_addc_u32 s41, s39, 0
	s_add_u32 s4, s40, s24
	s_addc_u32 s5, s41, s25
	s_cmp_eq_u64 s[4:5], 0
	s_cselect_b32 s5, s41, s5
	s_cselect_b32 s4, s40, s4
	s_and_b64 s[24:25], s[4:5], s[38:39]
	s_mul_i32 s25, s25, 24
	s_mul_hi_u32 s38, s24, 24
	s_mul_i32 s24, s24, 24
	s_add_i32 s25, s38, s25
	v_mov_b32_e32 v1, s25
	s_waitcnt vmcnt(0)
	v_add_co_u32_e32 v3, vcc, s24, v9
	v_addc_co_u32_e32 v4, vcc, v10, v1, vcc
	v_mov_b32_e32 v11, s4
	global_store_dwordx2 v[3:4], v[13:14], off
	v_mov_b32_e32 v12, s5
	s_waitcnt vmcnt(0)
	global_atomic_cmpswap_x2 v[11:12], v2, v[11:14], s[34:35] offset:24 glc
	s_waitcnt vmcnt(0)
	v_cmp_ne_u64_e32 vcc, v[11:12], v[13:14]
	s_and_b64 exec, exec, vcc
	s_cbranch_execz .LBB2_474
; %bb.472:                              ;   in Loop: Header=BB2_448 Depth=1
	s_mov_b64 s[24:25], 0
.LBB2_473:                              ;   Parent Loop BB2_448 Depth=1
                                        ; =>  This Inner Loop Header: Depth=2
	s_sleep 1
	global_store_dwordx2 v[3:4], v[11:12], off
	v_mov_b32_e32 v9, s4
	v_mov_b32_e32 v10, s5
	s_waitcnt vmcnt(0)
	global_atomic_cmpswap_x2 v[9:10], v2, v[9:12], s[34:35] offset:24 glc
	s_waitcnt vmcnt(0)
	v_cmp_eq_u64_e32 vcc, v[9:10], v[11:12]
	v_mov_b32_e32 v12, v10
	s_or_b64 s[24:25], vcc, s[24:25]
	v_mov_b32_e32 v11, v9
	s_andn2_b64 exec, exec, s[24:25]
	s_cbranch_execnz .LBB2_473
.LBB2_474:                              ;   in Loop: Header=BB2_448 Depth=1
	s_or_b64 exec, exec, s[36:37]
	s_and_b64 vcc, exec, s[16:17]
	s_cbranch_vccz .LBB2_560
; %bb.475:                              ;   in Loop: Header=BB2_448 Depth=1
	s_waitcnt vmcnt(0)
	v_and_b32_e32 v9, -3, v7
	v_mov_b32_e32 v10, v8
	s_mov_b64 s[36:37], 4
	s_getpc_b64 s[24:25]
	s_add_u32 s24, s24, .str.1@rel32@lo+4
	s_addc_u32 s25, s25, .str.1@rel32@hi+12
	s_branch .LBB2_477
.LBB2_476:                              ;   in Loop: Header=BB2_477 Depth=2
	s_or_b64 exec, exec, s[42:43]
	s_sub_u32 s36, s36, s38
	s_subb_u32 s37, s37, s39
	s_add_u32 s24, s24, s38
	s_addc_u32 s25, s25, s39
	s_cmp_lg_u64 s[36:37], 0
	s_cbranch_scc0 .LBB2_559
.LBB2_477:                              ;   Parent Loop BB2_448 Depth=1
                                        ; =>  This Loop Header: Depth=2
                                        ;       Child Loop BB2_480 Depth 3
                                        ;       Child Loop BB2_488 Depth 3
	;; [unrolled: 1-line block ×11, first 2 shown]
	v_cmp_lt_u64_e64 s[4:5], s[36:37], 56
	v_cmp_gt_u64_e64 s[40:41], s[36:37], 7
	s_and_b64 s[4:5], s[4:5], exec
	s_cselect_b32 s39, s37, 0
	s_cselect_b32 s38, s36, 56
	s_add_u32 s4, s24, 8
	s_addc_u32 s5, s25, 0
	s_and_b64 vcc, exec, s[40:41]
	s_cbranch_vccnz .LBB2_481
; %bb.478:                              ;   in Loop: Header=BB2_477 Depth=2
	s_cmp_eq_u64 s[36:37], 0
	s_cbranch_scc1 .LBB2_482
; %bb.479:                              ;   in Loop: Header=BB2_477 Depth=2
	v_mov_b32_e32 v11, 0
	s_lshl_b64 s[4:5], s[38:39], 3
	s_mov_b64 s[40:41], 0
	v_mov_b32_e32 v12, 0
	s_mov_b64 s[42:43], s[24:25]
.LBB2_480:                              ;   Parent Loop BB2_448 Depth=1
                                        ;     Parent Loop BB2_477 Depth=2
                                        ; =>    This Inner Loop Header: Depth=3
	global_load_ubyte v1, v2, s[42:43]
	s_waitcnt vmcnt(0)
	v_and_b32_e32 v1, 0xffff, v1
	v_lshlrev_b64 v[3:4], s40, v[1:2]
	s_add_u32 s40, s40, 8
	s_addc_u32 s41, s41, 0
	s_add_u32 s42, s42, 1
	s_addc_u32 s43, s43, 0
	v_or_b32_e32 v11, v3, v11
	s_cmp_lg_u32 s4, s40
	v_or_b32_e32 v12, v4, v12
	s_cbranch_scc1 .LBB2_480
	s_branch .LBB2_483
.LBB2_481:                              ;   in Loop: Header=BB2_477 Depth=2
	s_mov_b32 s44, 0
	s_branch .LBB2_484
.LBB2_482:                              ;   in Loop: Header=BB2_477 Depth=2
	v_mov_b32_e32 v11, 0
	v_mov_b32_e32 v12, 0
.LBB2_483:                              ;   in Loop: Header=BB2_477 Depth=2
	s_mov_b64 s[4:5], s[24:25]
	s_mov_b32 s44, 0
	s_cbranch_execnz .LBB2_485
.LBB2_484:                              ;   in Loop: Header=BB2_477 Depth=2
	global_load_dwordx2 v[11:12], v2, s[24:25]
	s_add_i32 s44, s38, -8
.LBB2_485:                              ;   in Loop: Header=BB2_477 Depth=2
	s_add_u32 s40, s4, 8
	s_addc_u32 s41, s5, 0
	s_cmp_gt_u32 s44, 7
	s_cbranch_scc1 .LBB2_489
; %bb.486:                              ;   in Loop: Header=BB2_477 Depth=2
	s_cmp_eq_u32 s44, 0
	s_cbranch_scc1 .LBB2_490
; %bb.487:                              ;   in Loop: Header=BB2_477 Depth=2
	v_mov_b32_e32 v13, 0
	s_mov_b64 s[40:41], 0
	v_mov_b32_e32 v14, 0
	s_mov_b64 s[42:43], 0
.LBB2_488:                              ;   Parent Loop BB2_448 Depth=1
                                        ;     Parent Loop BB2_477 Depth=2
                                        ; =>    This Inner Loop Header: Depth=3
	s_add_u32 s46, s4, s42
	s_addc_u32 s47, s5, s43
	global_load_ubyte v1, v2, s[46:47]
	s_add_u32 s42, s42, 1
	s_addc_u32 s43, s43, 0
	s_waitcnt vmcnt(0)
	v_and_b32_e32 v1, 0xffff, v1
	v_lshlrev_b64 v[3:4], s40, v[1:2]
	s_add_u32 s40, s40, 8
	s_addc_u32 s41, s41, 0
	v_or_b32_e32 v13, v3, v13
	s_cmp_lg_u32 s44, s42
	v_or_b32_e32 v14, v4, v14
	s_cbranch_scc1 .LBB2_488
	s_branch .LBB2_491
.LBB2_489:                              ;   in Loop: Header=BB2_477 Depth=2
                                        ; implicit-def: $vgpr13_vgpr14
	s_mov_b32 s45, 0
	s_branch .LBB2_492
.LBB2_490:                              ;   in Loop: Header=BB2_477 Depth=2
	v_mov_b32_e32 v13, 0
	v_mov_b32_e32 v14, 0
.LBB2_491:                              ;   in Loop: Header=BB2_477 Depth=2
	s_mov_b64 s[40:41], s[4:5]
	s_mov_b32 s45, 0
	s_cbranch_execnz .LBB2_493
.LBB2_492:                              ;   in Loop: Header=BB2_477 Depth=2
	global_load_dwordx2 v[13:14], v2, s[4:5]
	s_add_i32 s45, s44, -8
.LBB2_493:                              ;   in Loop: Header=BB2_477 Depth=2
	s_add_u32 s4, s40, 8
	s_addc_u32 s5, s41, 0
	s_cmp_gt_u32 s45, 7
	s_cbranch_scc1 .LBB2_497
; %bb.494:                              ;   in Loop: Header=BB2_477 Depth=2
	s_cmp_eq_u32 s45, 0
	s_cbranch_scc1 .LBB2_498
; %bb.495:                              ;   in Loop: Header=BB2_477 Depth=2
	v_mov_b32_e32 v15, 0
	s_mov_b64 s[4:5], 0
	v_mov_b32_e32 v16, 0
	s_mov_b64 s[42:43], 0
.LBB2_496:                              ;   Parent Loop BB2_448 Depth=1
                                        ;     Parent Loop BB2_477 Depth=2
                                        ; =>    This Inner Loop Header: Depth=3
	s_add_u32 s46, s40, s42
	s_addc_u32 s47, s41, s43
	global_load_ubyte v1, v2, s[46:47]
	s_add_u32 s42, s42, 1
	s_addc_u32 s43, s43, 0
	s_waitcnt vmcnt(0)
	v_and_b32_e32 v1, 0xffff, v1
	v_lshlrev_b64 v[3:4], s4, v[1:2]
	s_add_u32 s4, s4, 8
	s_addc_u32 s5, s5, 0
	v_or_b32_e32 v15, v3, v15
	s_cmp_lg_u32 s45, s42
	v_or_b32_e32 v16, v4, v16
	s_cbranch_scc1 .LBB2_496
	s_branch .LBB2_499
.LBB2_497:                              ;   in Loop: Header=BB2_477 Depth=2
	s_mov_b32 s44, 0
	s_branch .LBB2_500
.LBB2_498:                              ;   in Loop: Header=BB2_477 Depth=2
	v_mov_b32_e32 v15, 0
	v_mov_b32_e32 v16, 0
.LBB2_499:                              ;   in Loop: Header=BB2_477 Depth=2
	s_mov_b64 s[4:5], s[40:41]
	s_mov_b32 s44, 0
	s_cbranch_execnz .LBB2_501
.LBB2_500:                              ;   in Loop: Header=BB2_477 Depth=2
	global_load_dwordx2 v[15:16], v2, s[40:41]
	s_add_i32 s44, s45, -8
.LBB2_501:                              ;   in Loop: Header=BB2_477 Depth=2
	s_add_u32 s40, s4, 8
	s_addc_u32 s41, s5, 0
	s_cmp_gt_u32 s44, 7
	s_cbranch_scc1 .LBB2_505
; %bb.502:                              ;   in Loop: Header=BB2_477 Depth=2
	s_cmp_eq_u32 s44, 0
	s_cbranch_scc1 .LBB2_506
; %bb.503:                              ;   in Loop: Header=BB2_477 Depth=2
	v_mov_b32_e32 v17, 0
	s_mov_b64 s[40:41], 0
	v_mov_b32_e32 v18, 0
	s_mov_b64 s[42:43], 0
.LBB2_504:                              ;   Parent Loop BB2_448 Depth=1
                                        ;     Parent Loop BB2_477 Depth=2
                                        ; =>    This Inner Loop Header: Depth=3
	s_add_u32 s46, s4, s42
	s_addc_u32 s47, s5, s43
	global_load_ubyte v1, v2, s[46:47]
	s_add_u32 s42, s42, 1
	s_addc_u32 s43, s43, 0
	s_waitcnt vmcnt(0)
	v_and_b32_e32 v1, 0xffff, v1
	v_lshlrev_b64 v[3:4], s40, v[1:2]
	s_add_u32 s40, s40, 8
	s_addc_u32 s41, s41, 0
	v_or_b32_e32 v17, v3, v17
	s_cmp_lg_u32 s44, s42
	v_or_b32_e32 v18, v4, v18
	s_cbranch_scc1 .LBB2_504
	s_branch .LBB2_507
.LBB2_505:                              ;   in Loop: Header=BB2_477 Depth=2
                                        ; implicit-def: $vgpr17_vgpr18
	s_mov_b32 s45, 0
	s_branch .LBB2_508
.LBB2_506:                              ;   in Loop: Header=BB2_477 Depth=2
	v_mov_b32_e32 v17, 0
	v_mov_b32_e32 v18, 0
.LBB2_507:                              ;   in Loop: Header=BB2_477 Depth=2
	s_mov_b64 s[40:41], s[4:5]
	s_mov_b32 s45, 0
	s_cbranch_execnz .LBB2_509
.LBB2_508:                              ;   in Loop: Header=BB2_477 Depth=2
	global_load_dwordx2 v[17:18], v2, s[4:5]
	s_add_i32 s45, s44, -8
.LBB2_509:                              ;   in Loop: Header=BB2_477 Depth=2
	s_add_u32 s4, s40, 8
	s_addc_u32 s5, s41, 0
	s_cmp_gt_u32 s45, 7
	s_cbranch_scc1 .LBB2_513
; %bb.510:                              ;   in Loop: Header=BB2_477 Depth=2
	s_cmp_eq_u32 s45, 0
	s_cbranch_scc1 .LBB2_514
; %bb.511:                              ;   in Loop: Header=BB2_477 Depth=2
	v_mov_b32_e32 v19, 0
	s_mov_b64 s[4:5], 0
	v_mov_b32_e32 v20, 0
	s_mov_b64 s[42:43], 0
.LBB2_512:                              ;   Parent Loop BB2_448 Depth=1
                                        ;     Parent Loop BB2_477 Depth=2
                                        ; =>    This Inner Loop Header: Depth=3
	s_add_u32 s46, s40, s42
	s_addc_u32 s47, s41, s43
	global_load_ubyte v1, v2, s[46:47]
	s_add_u32 s42, s42, 1
	s_addc_u32 s43, s43, 0
	s_waitcnt vmcnt(0)
	v_and_b32_e32 v1, 0xffff, v1
	v_lshlrev_b64 v[3:4], s4, v[1:2]
	s_add_u32 s4, s4, 8
	s_addc_u32 s5, s5, 0
	v_or_b32_e32 v19, v3, v19
	s_cmp_lg_u32 s45, s42
	v_or_b32_e32 v20, v4, v20
	s_cbranch_scc1 .LBB2_512
	s_branch .LBB2_515
.LBB2_513:                              ;   in Loop: Header=BB2_477 Depth=2
	s_mov_b32 s44, 0
	s_branch .LBB2_516
.LBB2_514:                              ;   in Loop: Header=BB2_477 Depth=2
	v_mov_b32_e32 v19, 0
	v_mov_b32_e32 v20, 0
.LBB2_515:                              ;   in Loop: Header=BB2_477 Depth=2
	s_mov_b64 s[4:5], s[40:41]
	s_mov_b32 s44, 0
	s_cbranch_execnz .LBB2_517
.LBB2_516:                              ;   in Loop: Header=BB2_477 Depth=2
	global_load_dwordx2 v[19:20], v2, s[40:41]
	s_add_i32 s44, s45, -8
.LBB2_517:                              ;   in Loop: Header=BB2_477 Depth=2
	s_add_u32 s40, s4, 8
	s_addc_u32 s41, s5, 0
	s_cmp_gt_u32 s44, 7
	s_cbranch_scc1 .LBB2_521
; %bb.518:                              ;   in Loop: Header=BB2_477 Depth=2
	s_cmp_eq_u32 s44, 0
	s_cbranch_scc1 .LBB2_522
; %bb.519:                              ;   in Loop: Header=BB2_477 Depth=2
	v_mov_b32_e32 v21, 0
	s_mov_b64 s[40:41], 0
	v_mov_b32_e32 v22, 0
	s_mov_b64 s[42:43], 0
.LBB2_520:                              ;   Parent Loop BB2_448 Depth=1
                                        ;     Parent Loop BB2_477 Depth=2
                                        ; =>    This Inner Loop Header: Depth=3
	s_add_u32 s46, s4, s42
	s_addc_u32 s47, s5, s43
	global_load_ubyte v1, v2, s[46:47]
	s_add_u32 s42, s42, 1
	s_addc_u32 s43, s43, 0
	s_waitcnt vmcnt(0)
	v_and_b32_e32 v1, 0xffff, v1
	v_lshlrev_b64 v[3:4], s40, v[1:2]
	s_add_u32 s40, s40, 8
	s_addc_u32 s41, s41, 0
	v_or_b32_e32 v21, v3, v21
	s_cmp_lg_u32 s44, s42
	v_or_b32_e32 v22, v4, v22
	s_cbranch_scc1 .LBB2_520
	s_branch .LBB2_523
.LBB2_521:                              ;   in Loop: Header=BB2_477 Depth=2
                                        ; implicit-def: $vgpr21_vgpr22
	s_mov_b32 s45, 0
	s_branch .LBB2_524
.LBB2_522:                              ;   in Loop: Header=BB2_477 Depth=2
	v_mov_b32_e32 v21, 0
	v_mov_b32_e32 v22, 0
.LBB2_523:                              ;   in Loop: Header=BB2_477 Depth=2
	s_mov_b64 s[40:41], s[4:5]
	s_mov_b32 s45, 0
	s_cbranch_execnz .LBB2_525
.LBB2_524:                              ;   in Loop: Header=BB2_477 Depth=2
	global_load_dwordx2 v[21:22], v2, s[4:5]
	s_add_i32 s45, s44, -8
.LBB2_525:                              ;   in Loop: Header=BB2_477 Depth=2
	s_cmp_gt_u32 s45, 7
	s_cbranch_scc1 .LBB2_529
; %bb.526:                              ;   in Loop: Header=BB2_477 Depth=2
	s_cmp_eq_u32 s45, 0
	s_cbranch_scc1 .LBB2_530
; %bb.527:                              ;   in Loop: Header=BB2_477 Depth=2
	v_mov_b32_e32 v23, 0
	s_mov_b64 s[4:5], 0
	v_mov_b32_e32 v24, 0
	s_mov_b64 s[42:43], s[40:41]
.LBB2_528:                              ;   Parent Loop BB2_448 Depth=1
                                        ;     Parent Loop BB2_477 Depth=2
                                        ; =>    This Inner Loop Header: Depth=3
	global_load_ubyte v1, v2, s[42:43]
	s_add_i32 s45, s45, -1
	s_waitcnt vmcnt(0)
	v_and_b32_e32 v1, 0xffff, v1
	v_lshlrev_b64 v[3:4], s4, v[1:2]
	s_add_u32 s4, s4, 8
	s_addc_u32 s5, s5, 0
	s_add_u32 s42, s42, 1
	s_addc_u32 s43, s43, 0
	v_or_b32_e32 v23, v3, v23
	s_cmp_lg_u32 s45, 0
	v_or_b32_e32 v24, v4, v24
	s_cbranch_scc1 .LBB2_528
	s_branch .LBB2_531
.LBB2_529:                              ;   in Loop: Header=BB2_477 Depth=2
	s_branch .LBB2_532
.LBB2_530:                              ;   in Loop: Header=BB2_477 Depth=2
	v_mov_b32_e32 v23, 0
	v_mov_b32_e32 v24, 0
.LBB2_531:                              ;   in Loop: Header=BB2_477 Depth=2
	s_cbranch_execnz .LBB2_533
.LBB2_532:                              ;   in Loop: Header=BB2_477 Depth=2
	global_load_dwordx2 v[23:24], v2, s[40:41]
.LBB2_533:                              ;   in Loop: Header=BB2_477 Depth=2
	v_readfirstlane_b32 s4, v38
	v_mov_b32_e32 v3, 0
	v_mov_b32_e32 v4, 0
	v_cmp_eq_u32_e64 s[4:5], s4, v38
	s_and_saveexec_b64 s[40:41], s[4:5]
	s_cbranch_execz .LBB2_539
; %bb.534:                              ;   in Loop: Header=BB2_477 Depth=2
	global_load_dwordx2 v[27:28], v2, s[34:35] offset:24 glc
	s_waitcnt vmcnt(0)
	buffer_wbinvl1_vol
	global_load_dwordx2 v[3:4], v2, s[34:35] offset:40
	global_load_dwordx2 v[25:26], v2, s[34:35]
	s_waitcnt vmcnt(1)
	v_and_b32_e32 v1, v3, v27
	v_and_b32_e32 v3, v4, v28
	v_mul_lo_u32 v3, v3, 24
	v_mul_hi_u32 v4, v1, 24
	v_mul_lo_u32 v1, v1, 24
	v_add_u32_e32 v4, v4, v3
	s_waitcnt vmcnt(0)
	v_add_co_u32_e32 v3, vcc, v25, v1
	v_addc_co_u32_e32 v4, vcc, v26, v4, vcc
	global_load_dwordx2 v[25:26], v[3:4], off glc
	s_waitcnt vmcnt(0)
	global_atomic_cmpswap_x2 v[3:4], v2, v[25:28], s[34:35] offset:24 glc
	s_waitcnt vmcnt(0)
	buffer_wbinvl1_vol
	v_cmp_ne_u64_e32 vcc, v[3:4], v[27:28]
	s_and_saveexec_b64 s[42:43], vcc
	s_cbranch_execz .LBB2_538
; %bb.535:                              ;   in Loop: Header=BB2_477 Depth=2
	s_mov_b64 s[44:45], 0
.LBB2_536:                              ;   Parent Loop BB2_448 Depth=1
                                        ;     Parent Loop BB2_477 Depth=2
                                        ; =>    This Inner Loop Header: Depth=3
	s_sleep 1
	global_load_dwordx2 v[25:26], v2, s[34:35] offset:40
	global_load_dwordx2 v[29:30], v2, s[34:35]
	v_mov_b32_e32 v28, v4
	v_mov_b32_e32 v27, v3
	s_waitcnt vmcnt(1)
	v_and_b32_e32 v1, v25, v27
	s_waitcnt vmcnt(0)
	v_mad_u64_u32 v[3:4], s[46:47], v1, 24, v[29:30]
	v_and_b32_e32 v25, v26, v28
	v_mov_b32_e32 v1, v4
	v_mad_u64_u32 v[25:26], s[46:47], v25, 24, v[1:2]
	v_mov_b32_e32 v4, v25
	global_load_dwordx2 v[25:26], v[3:4], off glc
	s_waitcnt vmcnt(0)
	global_atomic_cmpswap_x2 v[3:4], v2, v[25:28], s[34:35] offset:24 glc
	s_waitcnt vmcnt(0)
	buffer_wbinvl1_vol
	v_cmp_eq_u64_e32 vcc, v[3:4], v[27:28]
	s_or_b64 s[44:45], vcc, s[44:45]
	s_andn2_b64 exec, exec, s[44:45]
	s_cbranch_execnz .LBB2_536
; %bb.537:                              ;   in Loop: Header=BB2_477 Depth=2
	s_or_b64 exec, exec, s[44:45]
.LBB2_538:                              ;   in Loop: Header=BB2_477 Depth=2
	s_or_b64 exec, exec, s[42:43]
.LBB2_539:                              ;   in Loop: Header=BB2_477 Depth=2
	s_or_b64 exec, exec, s[40:41]
	global_load_dwordx2 v[29:30], v2, s[34:35] offset:40
	global_load_dwordx4 v[25:28], v2, s[34:35]
	v_readfirstlane_b32 s41, v4
	v_readfirstlane_b32 s40, v3
	s_mov_b64 s[42:43], exec
	s_waitcnt vmcnt(1)
	v_readfirstlane_b32 s44, v29
	v_readfirstlane_b32 s45, v30
	s_and_b64 s[44:45], s[44:45], s[40:41]
	s_mul_i32 s46, s45, 24
	s_mul_hi_u32 s47, s44, 24
	s_mul_i32 s49, s44, 24
	s_add_i32 s46, s47, s46
	v_mov_b32_e32 v1, s46
	s_waitcnt vmcnt(0)
	v_add_co_u32_e32 v29, vcc, s49, v25
	v_addc_co_u32_e32 v30, vcc, v26, v1, vcc
	s_and_saveexec_b64 s[46:47], s[4:5]
	s_cbranch_execz .LBB2_541
; %bb.540:                              ;   in Loop: Header=BB2_477 Depth=2
	v_mov_b32_e32 v3, s42
	v_mov_b32_e32 v4, s43
	global_store_dwordx4 v[29:30], v[3:6], off offset:8
.LBB2_541:                              ;   in Loop: Header=BB2_477 Depth=2
	s_or_b64 exec, exec, s[46:47]
	s_lshl_b64 s[42:43], s[44:45], 12
	v_mov_b32_e32 v1, s43
	v_add_co_u32_e32 v27, vcc, s42, v27
	v_addc_co_u32_e32 v28, vcc, v28, v1, vcc
	v_cmp_lt_u64_e64 vcc, s[36:37], 57
	v_and_b32_e32 v1, 2, v7
	s_lshl_b32 s42, s38, 2
	v_cndmask_b32_e32 v1, 0, v1, vcc
	s_add_i32 s42, s42, 28
	v_and_b32_e32 v3, 0xffffff1f, v9
	s_and_b32 s42, s42, 0x1e0
	v_or_b32_e32 v1, v3, v1
	v_or_b32_e32 v9, s42, v1
	v_readfirstlane_b32 s42, v27
	v_readfirstlane_b32 s43, v28
	s_nop 4
	global_store_dwordx4 v37, v[9:12], s[42:43]
	global_store_dwordx4 v37, v[13:16], s[42:43] offset:16
	global_store_dwordx4 v37, v[17:20], s[42:43] offset:32
	;; [unrolled: 1-line block ×3, first 2 shown]
	s_and_saveexec_b64 s[42:43], s[4:5]
	s_cbranch_execz .LBB2_549
; %bb.542:                              ;   in Loop: Header=BB2_477 Depth=2
	global_load_dwordx2 v[13:14], v2, s[34:35] offset:32 glc
	global_load_dwordx2 v[3:4], v2, s[34:35] offset:40
	v_mov_b32_e32 v11, s40
	v_mov_b32_e32 v12, s41
	s_waitcnt vmcnt(0)
	v_readfirstlane_b32 s44, v3
	v_readfirstlane_b32 s45, v4
	s_and_b64 s[44:45], s[44:45], s[40:41]
	s_mul_i32 s45, s45, 24
	s_mul_hi_u32 s46, s44, 24
	s_mul_i32 s44, s44, 24
	s_add_i32 s45, s46, s45
	v_mov_b32_e32 v1, s45
	v_add_co_u32_e32 v3, vcc, s44, v25
	v_addc_co_u32_e32 v4, vcc, v26, v1, vcc
	global_store_dwordx2 v[3:4], v[13:14], off
	s_waitcnt vmcnt(0)
	global_atomic_cmpswap_x2 v[11:12], v2, v[11:14], s[34:35] offset:32 glc
	s_waitcnt vmcnt(0)
	v_cmp_ne_u64_e32 vcc, v[11:12], v[13:14]
	s_and_saveexec_b64 s[44:45], vcc
	s_cbranch_execz .LBB2_545
; %bb.543:                              ;   in Loop: Header=BB2_477 Depth=2
	s_mov_b64 s[46:47], 0
.LBB2_544:                              ;   Parent Loop BB2_448 Depth=1
                                        ;     Parent Loop BB2_477 Depth=2
                                        ; =>    This Inner Loop Header: Depth=3
	s_sleep 1
	global_store_dwordx2 v[3:4], v[11:12], off
	v_mov_b32_e32 v9, s40
	v_mov_b32_e32 v10, s41
	s_waitcnt vmcnt(0)
	global_atomic_cmpswap_x2 v[9:10], v2, v[9:12], s[34:35] offset:32 glc
	s_waitcnt vmcnt(0)
	v_cmp_eq_u64_e32 vcc, v[9:10], v[11:12]
	v_mov_b32_e32 v12, v10
	s_or_b64 s[46:47], vcc, s[46:47]
	v_mov_b32_e32 v11, v9
	s_andn2_b64 exec, exec, s[46:47]
	s_cbranch_execnz .LBB2_544
.LBB2_545:                              ;   in Loop: Header=BB2_477 Depth=2
	s_or_b64 exec, exec, s[44:45]
	global_load_dwordx2 v[3:4], v2, s[34:35] offset:16
	s_mov_b64 s[46:47], exec
	v_mbcnt_lo_u32_b32 v1, s46, 0
	v_mbcnt_hi_u32_b32 v1, s47, v1
	v_cmp_eq_u32_e32 vcc, 0, v1
	s_and_saveexec_b64 s[44:45], vcc
	s_cbranch_execz .LBB2_547
; %bb.546:                              ;   in Loop: Header=BB2_477 Depth=2
	s_bcnt1_i32_b64 s46, s[46:47]
	v_mov_b32_e32 v1, s46
	s_waitcnt vmcnt(0)
	global_atomic_add_x2 v[3:4], v[1:2], off offset:8
.LBB2_547:                              ;   in Loop: Header=BB2_477 Depth=2
	s_or_b64 exec, exec, s[44:45]
	s_waitcnt vmcnt(0)
	global_load_dwordx2 v[9:10], v[3:4], off offset:16
	s_waitcnt vmcnt(0)
	v_cmp_eq_u64_e32 vcc, 0, v[9:10]
	s_cbranch_vccnz .LBB2_549
; %bb.548:                              ;   in Loop: Header=BB2_477 Depth=2
	global_load_dword v1, v[3:4], off offset:24
	s_waitcnt vmcnt(0)
	v_readfirstlane_b32 s44, v1
	s_and_b32 m0, s44, 0xffffff
	global_store_dwordx2 v[9:10], v[1:2], off
	s_sendmsg sendmsg(MSG_INTERRUPT)
.LBB2_549:                              ;   in Loop: Header=BB2_477 Depth=2
	s_or_b64 exec, exec, s[42:43]
	v_add_co_u32_e32 v3, vcc, v27, v37
	v_addc_co_u32_e32 v4, vcc, 0, v28, vcc
	s_branch .LBB2_553
.LBB2_550:                              ;   in Loop: Header=BB2_553 Depth=3
	s_or_b64 exec, exec, s[42:43]
	v_readfirstlane_b32 s42, v1
	s_cmp_eq_u32 s42, 0
	s_cbranch_scc1 .LBB2_552
; %bb.551:                              ;   in Loop: Header=BB2_553 Depth=3
	s_sleep 1
	s_cbranch_execnz .LBB2_553
	s_branch .LBB2_555
.LBB2_552:                              ;   in Loop: Header=BB2_477 Depth=2
	s_branch .LBB2_555
.LBB2_553:                              ;   Parent Loop BB2_448 Depth=1
                                        ;     Parent Loop BB2_477 Depth=2
                                        ; =>    This Inner Loop Header: Depth=3
	v_mov_b32_e32 v1, 1
	s_and_saveexec_b64 s[42:43], s[4:5]
	s_cbranch_execz .LBB2_550
; %bb.554:                              ;   in Loop: Header=BB2_553 Depth=3
	global_load_dword v1, v[29:30], off offset:20 glc
	s_waitcnt vmcnt(0)
	buffer_wbinvl1_vol
	v_and_b32_e32 v1, 1, v1
	s_branch .LBB2_550
.LBB2_555:                              ;   in Loop: Header=BB2_477 Depth=2
	global_load_dwordx2 v[9:10], v[3:4], off
	s_and_saveexec_b64 s[42:43], s[4:5]
	s_cbranch_execz .LBB2_476
; %bb.556:                              ;   in Loop: Header=BB2_477 Depth=2
	global_load_dwordx2 v[3:4], v2, s[34:35] offset:40
	global_load_dwordx2 v[15:16], v2, s[34:35] offset:24 glc
	global_load_dwordx2 v[11:12], v2, s[34:35]
	s_waitcnt vmcnt(2)
	v_readfirstlane_b32 s44, v3
	v_readfirstlane_b32 s45, v4
	s_add_u32 s46, s44, 1
	s_addc_u32 s47, s45, 0
	s_add_u32 s4, s46, s40
	s_addc_u32 s5, s47, s41
	s_cmp_eq_u64 s[4:5], 0
	s_cselect_b32 s5, s47, s5
	s_cselect_b32 s4, s46, s4
	s_and_b64 s[40:41], s[4:5], s[44:45]
	s_mul_i32 s41, s41, 24
	s_mul_hi_u32 s44, s40, 24
	s_mul_i32 s40, s40, 24
	s_add_i32 s41, s44, s41
	v_mov_b32_e32 v1, s41
	s_waitcnt vmcnt(0)
	v_add_co_u32_e32 v3, vcc, s40, v11
	v_addc_co_u32_e32 v4, vcc, v12, v1, vcc
	v_mov_b32_e32 v13, s4
	global_store_dwordx2 v[3:4], v[15:16], off
	v_mov_b32_e32 v14, s5
	s_waitcnt vmcnt(0)
	global_atomic_cmpswap_x2 v[13:14], v2, v[13:16], s[34:35] offset:24 glc
	s_waitcnt vmcnt(0)
	v_cmp_ne_u64_e32 vcc, v[13:14], v[15:16]
	s_and_b64 exec, exec, vcc
	s_cbranch_execz .LBB2_476
; %bb.557:                              ;   in Loop: Header=BB2_477 Depth=2
	s_mov_b64 s[40:41], 0
.LBB2_558:                              ;   Parent Loop BB2_448 Depth=1
                                        ;     Parent Loop BB2_477 Depth=2
                                        ; =>    This Inner Loop Header: Depth=3
	s_sleep 1
	global_store_dwordx2 v[3:4], v[13:14], off
	v_mov_b32_e32 v11, s4
	v_mov_b32_e32 v12, s5
	s_waitcnt vmcnt(0)
	global_atomic_cmpswap_x2 v[11:12], v2, v[11:14], s[34:35] offset:24 glc
	s_waitcnt vmcnt(0)
	v_cmp_eq_u64_e32 vcc, v[11:12], v[13:14]
	v_mov_b32_e32 v14, v12
	s_or_b64 s[40:41], vcc, s[40:41]
	v_mov_b32_e32 v13, v11
	s_andn2_b64 exec, exec, s[40:41]
	s_cbranch_execnz .LBB2_558
	s_branch .LBB2_476
.LBB2_559:                              ;   in Loop: Header=BB2_448 Depth=1
	s_branch .LBB2_588
.LBB2_560:                              ;   in Loop: Header=BB2_448 Depth=1
                                        ; implicit-def: $vgpr9_vgpr10
	s_cbranch_execz .LBB2_588
; %bb.561:                              ;   in Loop: Header=BB2_448 Depth=1
	v_readfirstlane_b32 s4, v38
	v_mov_b32_e32 v3, 0
	v_mov_b32_e32 v4, 0
	v_cmp_eq_u32_e64 s[4:5], s4, v38
	s_and_saveexec_b64 s[24:25], s[4:5]
	s_cbranch_execz .LBB2_567
; %bb.562:                              ;   in Loop: Header=BB2_448 Depth=1
	global_load_dwordx2 v[11:12], v2, s[34:35] offset:24 glc
	s_waitcnt vmcnt(0)
	buffer_wbinvl1_vol
	global_load_dwordx2 v[3:4], v2, s[34:35] offset:40
	global_load_dwordx2 v[9:10], v2, s[34:35]
	s_waitcnt vmcnt(1)
	v_and_b32_e32 v1, v3, v11
	v_and_b32_e32 v3, v4, v12
	v_mul_lo_u32 v3, v3, 24
	v_mul_hi_u32 v4, v1, 24
	v_mul_lo_u32 v1, v1, 24
	v_add_u32_e32 v4, v4, v3
	s_waitcnt vmcnt(0)
	v_add_co_u32_e32 v3, vcc, v9, v1
	v_addc_co_u32_e32 v4, vcc, v10, v4, vcc
	global_load_dwordx2 v[9:10], v[3:4], off glc
	s_waitcnt vmcnt(0)
	global_atomic_cmpswap_x2 v[3:4], v2, v[9:12], s[34:35] offset:24 glc
	s_waitcnt vmcnt(0)
	buffer_wbinvl1_vol
	v_cmp_ne_u64_e32 vcc, v[3:4], v[11:12]
	s_and_saveexec_b64 s[36:37], vcc
	s_cbranch_execz .LBB2_566
; %bb.563:                              ;   in Loop: Header=BB2_448 Depth=1
	s_mov_b64 s[38:39], 0
.LBB2_564:                              ;   Parent Loop BB2_448 Depth=1
                                        ; =>  This Inner Loop Header: Depth=2
	s_sleep 1
	global_load_dwordx2 v[9:10], v2, s[34:35] offset:40
	global_load_dwordx2 v[13:14], v2, s[34:35]
	v_mov_b32_e32 v12, v4
	v_mov_b32_e32 v11, v3
	s_waitcnt vmcnt(1)
	v_and_b32_e32 v1, v9, v11
	s_waitcnt vmcnt(0)
	v_mad_u64_u32 v[3:4], s[40:41], v1, 24, v[13:14]
	v_and_b32_e32 v9, v10, v12
	v_mov_b32_e32 v1, v4
	v_mad_u64_u32 v[9:10], s[40:41], v9, 24, v[1:2]
	v_mov_b32_e32 v4, v9
	global_load_dwordx2 v[9:10], v[3:4], off glc
	s_waitcnt vmcnt(0)
	global_atomic_cmpswap_x2 v[3:4], v2, v[9:12], s[34:35] offset:24 glc
	s_waitcnt vmcnt(0)
	buffer_wbinvl1_vol
	v_cmp_eq_u64_e32 vcc, v[3:4], v[11:12]
	s_or_b64 s[38:39], vcc, s[38:39]
	s_andn2_b64 exec, exec, s[38:39]
	s_cbranch_execnz .LBB2_564
; %bb.565:                              ;   in Loop: Header=BB2_448 Depth=1
	s_or_b64 exec, exec, s[38:39]
.LBB2_566:                              ;   in Loop: Header=BB2_448 Depth=1
	s_or_b64 exec, exec, s[36:37]
.LBB2_567:                              ;   in Loop: Header=BB2_448 Depth=1
	s_or_b64 exec, exec, s[24:25]
	global_load_dwordx2 v[9:10], v2, s[34:35] offset:40
	global_load_dwordx4 v[11:14], v2, s[34:35]
	v_readfirstlane_b32 s25, v4
	v_readfirstlane_b32 s24, v3
	s_mov_b64 s[36:37], exec
	s_waitcnt vmcnt(1)
	v_readfirstlane_b32 s38, v9
	v_readfirstlane_b32 s39, v10
	s_and_b64 s[38:39], s[38:39], s[24:25]
	s_mul_i32 s40, s39, 24
	s_mul_hi_u32 s41, s38, 24
	s_mul_i32 s42, s38, 24
	s_add_i32 s40, s41, s40
	v_mov_b32_e32 v1, s40
	s_waitcnt vmcnt(0)
	v_add_co_u32_e32 v15, vcc, s42, v11
	v_addc_co_u32_e32 v16, vcc, v12, v1, vcc
	s_and_saveexec_b64 s[40:41], s[4:5]
	s_cbranch_execz .LBB2_569
; %bb.568:                              ;   in Loop: Header=BB2_448 Depth=1
	v_mov_b32_e32 v3, s36
	v_mov_b32_e32 v4, s37
	global_store_dwordx4 v[15:16], v[3:6], off offset:8
.LBB2_569:                              ;   in Loop: Header=BB2_448 Depth=1
	s_or_b64 exec, exec, s[40:41]
	s_lshl_b64 s[36:37], s[38:39], 12
	v_mov_b32_e32 v1, s37
	v_add_co_u32_e32 v13, vcc, s36, v13
	v_addc_co_u32_e32 v14, vcc, v14, v1, vcc
	v_and_or_b32 v7, v7, s33, 32
	v_mov_b32_e32 v9, v2
	v_mov_b32_e32 v10, v2
	v_readfirstlane_b32 s36, v13
	v_readfirstlane_b32 s37, v14
	s_nop 4
	global_store_dwordx4 v37, v[7:10], s[36:37]
	s_nop 0
	v_mov_b32_e32 v7, s12
	v_mov_b32_e32 v8, s13
	;; [unrolled: 1-line block ×4, first 2 shown]
	global_store_dwordx4 v37, v[7:10], s[36:37] offset:16
	global_store_dwordx4 v37, v[7:10], s[36:37] offset:32
	;; [unrolled: 1-line block ×3, first 2 shown]
	s_and_saveexec_b64 s[36:37], s[4:5]
	s_cbranch_execz .LBB2_577
; %bb.570:                              ;   in Loop: Header=BB2_448 Depth=1
	global_load_dwordx2 v[19:20], v2, s[34:35] offset:32 glc
	global_load_dwordx2 v[3:4], v2, s[34:35] offset:40
	v_mov_b32_e32 v17, s24
	v_mov_b32_e32 v18, s25
	s_waitcnt vmcnt(0)
	v_readfirstlane_b32 s38, v3
	v_readfirstlane_b32 s39, v4
	s_and_b64 s[38:39], s[38:39], s[24:25]
	s_mul_i32 s39, s39, 24
	s_mul_hi_u32 s40, s38, 24
	s_mul_i32 s38, s38, 24
	s_add_i32 s39, s40, s39
	v_mov_b32_e32 v1, s39
	v_add_co_u32_e32 v3, vcc, s38, v11
	v_addc_co_u32_e32 v4, vcc, v12, v1, vcc
	global_store_dwordx2 v[3:4], v[19:20], off
	s_waitcnt vmcnt(0)
	global_atomic_cmpswap_x2 v[9:10], v2, v[17:20], s[34:35] offset:32 glc
	s_waitcnt vmcnt(0)
	v_cmp_ne_u64_e32 vcc, v[9:10], v[19:20]
	s_and_saveexec_b64 s[38:39], vcc
	s_cbranch_execz .LBB2_573
; %bb.571:                              ;   in Loop: Header=BB2_448 Depth=1
	s_mov_b64 s[40:41], 0
.LBB2_572:                              ;   Parent Loop BB2_448 Depth=1
                                        ; =>  This Inner Loop Header: Depth=2
	s_sleep 1
	global_store_dwordx2 v[3:4], v[9:10], off
	v_mov_b32_e32 v7, s24
	v_mov_b32_e32 v8, s25
	s_waitcnt vmcnt(0)
	global_atomic_cmpswap_x2 v[7:8], v2, v[7:10], s[34:35] offset:32 glc
	s_waitcnt vmcnt(0)
	v_cmp_eq_u64_e32 vcc, v[7:8], v[9:10]
	v_mov_b32_e32 v10, v8
	s_or_b64 s[40:41], vcc, s[40:41]
	v_mov_b32_e32 v9, v7
	s_andn2_b64 exec, exec, s[40:41]
	s_cbranch_execnz .LBB2_572
.LBB2_573:                              ;   in Loop: Header=BB2_448 Depth=1
	s_or_b64 exec, exec, s[38:39]
	global_load_dwordx2 v[3:4], v2, s[34:35] offset:16
	s_mov_b64 s[40:41], exec
	v_mbcnt_lo_u32_b32 v1, s40, 0
	v_mbcnt_hi_u32_b32 v1, s41, v1
	v_cmp_eq_u32_e32 vcc, 0, v1
	s_and_saveexec_b64 s[38:39], vcc
	s_cbranch_execz .LBB2_575
; %bb.574:                              ;   in Loop: Header=BB2_448 Depth=1
	s_bcnt1_i32_b64 s40, s[40:41]
	v_mov_b32_e32 v1, s40
	s_waitcnt vmcnt(0)
	global_atomic_add_x2 v[3:4], v[1:2], off offset:8
.LBB2_575:                              ;   in Loop: Header=BB2_448 Depth=1
	s_or_b64 exec, exec, s[38:39]
	s_waitcnt vmcnt(0)
	global_load_dwordx2 v[7:8], v[3:4], off offset:16
	s_waitcnt vmcnt(0)
	v_cmp_eq_u64_e32 vcc, 0, v[7:8]
	s_cbranch_vccnz .LBB2_577
; %bb.576:                              ;   in Loop: Header=BB2_448 Depth=1
	global_load_dword v1, v[3:4], off offset:24
	s_waitcnt vmcnt(0)
	v_readfirstlane_b32 s38, v1
	s_and_b32 m0, s38, 0xffffff
	global_store_dwordx2 v[7:8], v[1:2], off
	s_sendmsg sendmsg(MSG_INTERRUPT)
.LBB2_577:                              ;   in Loop: Header=BB2_448 Depth=1
	s_or_b64 exec, exec, s[36:37]
	v_add_co_u32_e32 v3, vcc, v13, v37
	v_addc_co_u32_e32 v4, vcc, 0, v14, vcc
	s_branch .LBB2_581
.LBB2_578:                              ;   in Loop: Header=BB2_581 Depth=2
	s_or_b64 exec, exec, s[36:37]
	v_readfirstlane_b32 s36, v1
	s_cmp_eq_u32 s36, 0
	s_cbranch_scc1 .LBB2_580
; %bb.579:                              ;   in Loop: Header=BB2_581 Depth=2
	s_sleep 1
	s_cbranch_execnz .LBB2_581
	s_branch .LBB2_583
.LBB2_580:                              ;   in Loop: Header=BB2_448 Depth=1
	s_branch .LBB2_583
.LBB2_581:                              ;   Parent Loop BB2_448 Depth=1
                                        ; =>  This Inner Loop Header: Depth=2
	v_mov_b32_e32 v1, 1
	s_and_saveexec_b64 s[36:37], s[4:5]
	s_cbranch_execz .LBB2_578
; %bb.582:                              ;   in Loop: Header=BB2_581 Depth=2
	global_load_dword v1, v[15:16], off offset:20 glc
	s_waitcnt vmcnt(0)
	buffer_wbinvl1_vol
	v_and_b32_e32 v1, 1, v1
	s_branch .LBB2_578
.LBB2_583:                              ;   in Loop: Header=BB2_448 Depth=1
	global_load_dwordx2 v[9:10], v[3:4], off
	s_and_saveexec_b64 s[36:37], s[4:5]
	s_cbranch_execz .LBB2_587
; %bb.584:                              ;   in Loop: Header=BB2_448 Depth=1
	global_load_dwordx2 v[3:4], v2, s[34:35] offset:40
	global_load_dwordx2 v[15:16], v2, s[34:35] offset:24 glc
	global_load_dwordx2 v[7:8], v2, s[34:35]
	s_waitcnt vmcnt(2)
	v_readfirstlane_b32 s38, v3
	v_readfirstlane_b32 s39, v4
	s_add_u32 s40, s38, 1
	s_addc_u32 s41, s39, 0
	s_add_u32 s4, s40, s24
	s_addc_u32 s5, s41, s25
	s_cmp_eq_u64 s[4:5], 0
	s_cselect_b32 s5, s41, s5
	s_cselect_b32 s4, s40, s4
	s_and_b64 s[24:25], s[4:5], s[38:39]
	s_mul_i32 s25, s25, 24
	s_mul_hi_u32 s38, s24, 24
	s_mul_i32 s24, s24, 24
	s_add_i32 s25, s38, s25
	v_mov_b32_e32 v1, s25
	s_waitcnt vmcnt(0)
	v_add_co_u32_e32 v3, vcc, s24, v7
	v_addc_co_u32_e32 v4, vcc, v8, v1, vcc
	v_mov_b32_e32 v13, s4
	global_store_dwordx2 v[3:4], v[15:16], off
	v_mov_b32_e32 v14, s5
	s_waitcnt vmcnt(0)
	global_atomic_cmpswap_x2 v[13:14], v2, v[13:16], s[34:35] offset:24 glc
	s_waitcnt vmcnt(0)
	v_cmp_ne_u64_e32 vcc, v[13:14], v[15:16]
	s_and_b64 exec, exec, vcc
	s_cbranch_execz .LBB2_587
; %bb.585:                              ;   in Loop: Header=BB2_448 Depth=1
	s_mov_b64 s[24:25], 0
.LBB2_586:                              ;   Parent Loop BB2_448 Depth=1
                                        ; =>  This Inner Loop Header: Depth=2
	s_sleep 1
	global_store_dwordx2 v[3:4], v[13:14], off
	v_mov_b32_e32 v11, s4
	v_mov_b32_e32 v12, s5
	s_waitcnt vmcnt(0)
	global_atomic_cmpswap_x2 v[7:8], v2, v[11:14], s[34:35] offset:24 glc
	s_waitcnt vmcnt(0)
	v_cmp_eq_u64_e32 vcc, v[7:8], v[13:14]
	v_mov_b32_e32 v14, v8
	s_or_b64 s[24:25], vcc, s[24:25]
	v_mov_b32_e32 v13, v7
	s_andn2_b64 exec, exec, s[24:25]
	s_cbranch_execnz .LBB2_586
.LBB2_587:                              ;   in Loop: Header=BB2_448 Depth=1
	s_or_b64 exec, exec, s[36:37]
.LBB2_588:                              ;   in Loop: Header=BB2_448 Depth=1
	v_readfirstlane_b32 s4, v38
	v_mov_b32_e32 v3, 0
	v_mov_b32_e32 v4, 0
	v_cmp_eq_u32_e64 s[4:5], s4, v38
	s_and_saveexec_b64 s[24:25], s[4:5]
	s_cbranch_execz .LBB2_594
; %bb.589:                              ;   in Loop: Header=BB2_448 Depth=1
	global_load_dwordx2 v[13:14], v2, s[34:35] offset:24 glc
	s_waitcnt vmcnt(0)
	buffer_wbinvl1_vol
	global_load_dwordx2 v[3:4], v2, s[34:35] offset:40
	global_load_dwordx2 v[7:8], v2, s[34:35]
	s_waitcnt vmcnt(1)
	v_and_b32_e32 v1, v3, v13
	v_and_b32_e32 v3, v4, v14
	v_mul_lo_u32 v3, v3, 24
	v_mul_hi_u32 v4, v1, 24
	v_mul_lo_u32 v1, v1, 24
	v_add_u32_e32 v4, v4, v3
	s_waitcnt vmcnt(0)
	v_add_co_u32_e32 v3, vcc, v7, v1
	v_addc_co_u32_e32 v4, vcc, v8, v4, vcc
	global_load_dwordx2 v[11:12], v[3:4], off glc
	s_waitcnt vmcnt(0)
	global_atomic_cmpswap_x2 v[3:4], v2, v[11:14], s[34:35] offset:24 glc
	s_waitcnt vmcnt(0)
	buffer_wbinvl1_vol
	v_cmp_ne_u64_e32 vcc, v[3:4], v[13:14]
	s_and_saveexec_b64 s[36:37], vcc
	s_cbranch_execz .LBB2_593
; %bb.590:                              ;   in Loop: Header=BB2_448 Depth=1
	s_mov_b64 s[38:39], 0
.LBB2_591:                              ;   Parent Loop BB2_448 Depth=1
                                        ; =>  This Inner Loop Header: Depth=2
	s_sleep 1
	global_load_dwordx2 v[7:8], v2, s[34:35] offset:40
	global_load_dwordx2 v[11:12], v2, s[34:35]
	v_mov_b32_e32 v14, v4
	v_mov_b32_e32 v13, v3
	s_waitcnt vmcnt(1)
	v_and_b32_e32 v1, v7, v13
	s_waitcnt vmcnt(0)
	v_mad_u64_u32 v[3:4], s[40:41], v1, 24, v[11:12]
	v_and_b32_e32 v7, v8, v14
	v_mov_b32_e32 v1, v4
	v_mad_u64_u32 v[7:8], s[40:41], v7, 24, v[1:2]
	v_mov_b32_e32 v4, v7
	global_load_dwordx2 v[11:12], v[3:4], off glc
	s_waitcnt vmcnt(0)
	global_atomic_cmpswap_x2 v[3:4], v2, v[11:14], s[34:35] offset:24 glc
	s_waitcnt vmcnt(0)
	buffer_wbinvl1_vol
	v_cmp_eq_u64_e32 vcc, v[3:4], v[13:14]
	s_or_b64 s[38:39], vcc, s[38:39]
	s_andn2_b64 exec, exec, s[38:39]
	s_cbranch_execnz .LBB2_591
; %bb.592:                              ;   in Loop: Header=BB2_448 Depth=1
	s_or_b64 exec, exec, s[38:39]
.LBB2_593:                              ;   in Loop: Header=BB2_448 Depth=1
	s_or_b64 exec, exec, s[36:37]
.LBB2_594:                              ;   in Loop: Header=BB2_448 Depth=1
	s_or_b64 exec, exec, s[24:25]
	global_load_dwordx2 v[7:8], v2, s[34:35] offset:40
	global_load_dwordx4 v[13:16], v2, s[34:35]
	v_readfirstlane_b32 s25, v4
	v_readfirstlane_b32 s24, v3
	s_mov_b64 s[36:37], exec
	s_waitcnt vmcnt(1)
	v_readfirstlane_b32 s38, v7
	v_readfirstlane_b32 s39, v8
	s_and_b64 s[38:39], s[38:39], s[24:25]
	s_mul_i32 s40, s39, 24
	s_mul_hi_u32 s41, s38, 24
	s_mul_i32 s42, s38, 24
	s_add_i32 s40, s41, s40
	v_mov_b32_e32 v1, s40
	s_waitcnt vmcnt(0)
	v_add_co_u32_e32 v17, vcc, s42, v13
	v_addc_co_u32_e32 v18, vcc, v14, v1, vcc
	s_and_saveexec_b64 s[40:41], s[4:5]
	s_cbranch_execz .LBB2_596
; %bb.595:                              ;   in Loop: Header=BB2_448 Depth=1
	v_mov_b32_e32 v3, s36
	v_mov_b32_e32 v4, s37
	global_store_dwordx4 v[17:18], v[3:6], off offset:8
.LBB2_596:                              ;   in Loop: Header=BB2_448 Depth=1
	s_or_b64 exec, exec, s[40:41]
	s_lshl_b64 s[36:37], s[38:39], 12
	v_mov_b32_e32 v1, s37
	v_add_co_u32_e32 v3, vcc, s36, v15
	v_addc_co_u32_e32 v1, vcc, v16, v1, vcc
	s_add_i32 s22, s22, 1
	v_and_or_b32 v9, v9, s48, 34
	v_mov_b32_e32 v11, s22
	v_mov_b32_e32 v12, v2
	v_readfirstlane_b32 s36, v3
	v_readfirstlane_b32 s37, v1
	s_nop 4
	global_store_dwordx4 v37, v[9:12], s[36:37]
	v_mov_b32_e32 v7, s12
	v_mov_b32_e32 v8, s13
	;; [unrolled: 1-line block ×4, first 2 shown]
	global_store_dwordx4 v37, v[7:10], s[36:37] offset:16
	global_store_dwordx4 v37, v[7:10], s[36:37] offset:32
	;; [unrolled: 1-line block ×3, first 2 shown]
	s_and_saveexec_b64 s[36:37], s[4:5]
	s_cbranch_execz .LBB2_604
; %bb.597:                              ;   in Loop: Header=BB2_448 Depth=1
	global_load_dwordx2 v[11:12], v2, s[34:35] offset:32 glc
	global_load_dwordx2 v[3:4], v2, s[34:35] offset:40
	v_mov_b32_e32 v9, s24
	v_mov_b32_e32 v10, s25
	s_waitcnt vmcnt(0)
	v_readfirstlane_b32 s38, v3
	v_readfirstlane_b32 s39, v4
	s_and_b64 s[38:39], s[38:39], s[24:25]
	s_mul_i32 s39, s39, 24
	s_mul_hi_u32 s40, s38, 24
	s_mul_i32 s38, s38, 24
	s_add_i32 s39, s40, s39
	v_mov_b32_e32 v1, s39
	v_add_co_u32_e32 v3, vcc, s38, v13
	v_addc_co_u32_e32 v4, vcc, v14, v1, vcc
	global_store_dwordx2 v[3:4], v[11:12], off
	s_waitcnt vmcnt(0)
	global_atomic_cmpswap_x2 v[9:10], v2, v[9:12], s[34:35] offset:32 glc
	s_waitcnt vmcnt(0)
	v_cmp_ne_u64_e32 vcc, v[9:10], v[11:12]
	s_and_saveexec_b64 s[38:39], vcc
	s_cbranch_execz .LBB2_600
; %bb.598:                              ;   in Loop: Header=BB2_448 Depth=1
	s_mov_b64 s[40:41], 0
.LBB2_599:                              ;   Parent Loop BB2_448 Depth=1
                                        ; =>  This Inner Loop Header: Depth=2
	s_sleep 1
	global_store_dwordx2 v[3:4], v[9:10], off
	v_mov_b32_e32 v7, s24
	v_mov_b32_e32 v8, s25
	s_waitcnt vmcnt(0)
	global_atomic_cmpswap_x2 v[7:8], v2, v[7:10], s[34:35] offset:32 glc
	s_waitcnt vmcnt(0)
	v_cmp_eq_u64_e32 vcc, v[7:8], v[9:10]
	v_mov_b32_e32 v10, v8
	s_or_b64 s[40:41], vcc, s[40:41]
	v_mov_b32_e32 v9, v7
	s_andn2_b64 exec, exec, s[40:41]
	s_cbranch_execnz .LBB2_599
.LBB2_600:                              ;   in Loop: Header=BB2_448 Depth=1
	s_or_b64 exec, exec, s[38:39]
	global_load_dwordx2 v[3:4], v2, s[34:35] offset:16
	s_mov_b64 s[40:41], exec
	v_mbcnt_lo_u32_b32 v1, s40, 0
	v_mbcnt_hi_u32_b32 v1, s41, v1
	v_cmp_eq_u32_e32 vcc, 0, v1
	s_and_saveexec_b64 s[38:39], vcc
	s_cbranch_execz .LBB2_602
; %bb.601:                              ;   in Loop: Header=BB2_448 Depth=1
	s_bcnt1_i32_b64 s40, s[40:41]
	v_mov_b32_e32 v1, s40
	s_waitcnt vmcnt(0)
	global_atomic_add_x2 v[3:4], v[1:2], off offset:8
.LBB2_602:                              ;   in Loop: Header=BB2_448 Depth=1
	s_or_b64 exec, exec, s[38:39]
	s_waitcnt vmcnt(0)
	global_load_dwordx2 v[7:8], v[3:4], off offset:16
	s_waitcnt vmcnt(0)
	v_cmp_eq_u64_e32 vcc, 0, v[7:8]
	s_cbranch_vccnz .LBB2_604
; %bb.603:                              ;   in Loop: Header=BB2_448 Depth=1
	global_load_dword v1, v[3:4], off offset:24
	s_waitcnt vmcnt(0)
	v_readfirstlane_b32 s38, v1
	s_and_b32 m0, s38, 0xffffff
	global_store_dwordx2 v[7:8], v[1:2], off
	s_sendmsg sendmsg(MSG_INTERRUPT)
.LBB2_604:                              ;   in Loop: Header=BB2_448 Depth=1
	s_or_b64 exec, exec, s[36:37]
	s_branch .LBB2_608
.LBB2_605:                              ;   in Loop: Header=BB2_608 Depth=2
	s_or_b64 exec, exec, s[36:37]
	v_readfirstlane_b32 s36, v1
	s_cmp_eq_u32 s36, 0
	s_cbranch_scc1 .LBB2_607
; %bb.606:                              ;   in Loop: Header=BB2_608 Depth=2
	s_sleep 1
	s_cbranch_execnz .LBB2_608
	s_branch .LBB2_610
.LBB2_607:                              ;   in Loop: Header=BB2_448 Depth=1
	s_branch .LBB2_610
.LBB2_608:                              ;   Parent Loop BB2_448 Depth=1
                                        ; =>  This Inner Loop Header: Depth=2
	v_mov_b32_e32 v1, 1
	s_and_saveexec_b64 s[36:37], s[4:5]
	s_cbranch_execz .LBB2_605
; %bb.609:                              ;   in Loop: Header=BB2_608 Depth=2
	global_load_dword v1, v[17:18], off offset:20 glc
	s_waitcnt vmcnt(0)
	buffer_wbinvl1_vol
	v_and_b32_e32 v1, 1, v1
	s_branch .LBB2_605
.LBB2_610:                              ;   in Loop: Header=BB2_448 Depth=1
	s_and_saveexec_b64 s[36:37], s[4:5]
	s_cbranch_execz .LBB2_614
; %bb.611:                              ;   in Loop: Header=BB2_448 Depth=1
	global_load_dwordx2 v[3:4], v2, s[34:35] offset:40
	global_load_dwordx2 v[11:12], v2, s[34:35] offset:24 glc
	global_load_dwordx2 v[7:8], v2, s[34:35]
	s_waitcnt vmcnt(2)
	v_readfirstlane_b32 s38, v3
	v_readfirstlane_b32 s39, v4
	s_add_u32 s40, s38, 1
	s_addc_u32 s41, s39, 0
	s_add_u32 s4, s40, s24
	s_addc_u32 s5, s41, s25
	s_cmp_eq_u64 s[4:5], 0
	s_cselect_b32 s5, s41, s5
	s_cselect_b32 s4, s40, s4
	s_and_b64 s[24:25], s[4:5], s[38:39]
	s_mul_i32 s25, s25, 24
	s_mul_hi_u32 s38, s24, 24
	s_mul_i32 s24, s24, 24
	s_add_i32 s25, s38, s25
	v_mov_b32_e32 v1, s25
	s_waitcnt vmcnt(0)
	v_add_co_u32_e32 v3, vcc, s24, v7
	v_addc_co_u32_e32 v4, vcc, v8, v1, vcc
	v_mov_b32_e32 v9, s4
	global_store_dwordx2 v[3:4], v[11:12], off
	v_mov_b32_e32 v10, s5
	s_waitcnt vmcnt(0)
	global_atomic_cmpswap_x2 v[9:10], v2, v[9:12], s[34:35] offset:24 glc
	s_waitcnt vmcnt(0)
	v_cmp_ne_u64_e32 vcc, v[9:10], v[11:12]
	s_and_b64 exec, exec, vcc
	s_cbranch_execz .LBB2_614
; %bb.612:                              ;   in Loop: Header=BB2_448 Depth=1
	s_mov_b64 s[24:25], 0
.LBB2_613:                              ;   Parent Loop BB2_448 Depth=1
                                        ; =>  This Inner Loop Header: Depth=2
	s_sleep 1
	global_store_dwordx2 v[3:4], v[9:10], off
	v_mov_b32_e32 v7, s4
	v_mov_b32_e32 v8, s5
	s_waitcnt vmcnt(0)
	global_atomic_cmpswap_x2 v[7:8], v2, v[7:10], s[34:35] offset:24 glc
	s_waitcnt vmcnt(0)
	v_cmp_eq_u64_e32 vcc, v[7:8], v[9:10]
	v_mov_b32_e32 v10, v8
	s_or_b64 s[24:25], vcc, s[24:25]
	v_mov_b32_e32 v9, v7
	s_andn2_b64 exec, exec, s[24:25]
	s_cbranch_execnz .LBB2_613
.LBB2_614:                              ;   in Loop: Header=BB2_448 Depth=1
	s_or_b64 exec, exec, s[36:37]
	v_readfirstlane_b32 s4, v38
	v_mov_b32_e32 v3, 0
	v_mov_b32_e32 v4, 0
	v_cmp_eq_u32_e64 s[4:5], s4, v38
	s_and_saveexec_b64 s[24:25], s[4:5]
	s_cbranch_execz .LBB2_620
; %bb.615:                              ;   in Loop: Header=BB2_448 Depth=1
	global_load_dwordx2 v[9:10], v2, s[34:35] offset:24 glc
	s_waitcnt vmcnt(0)
	buffer_wbinvl1_vol
	global_load_dwordx2 v[3:4], v2, s[34:35] offset:40
	global_load_dwordx2 v[7:8], v2, s[34:35]
	s_waitcnt vmcnt(1)
	v_and_b32_e32 v1, v3, v9
	v_and_b32_e32 v3, v4, v10
	v_mul_lo_u32 v3, v3, 24
	v_mul_hi_u32 v4, v1, 24
	v_mul_lo_u32 v1, v1, 24
	v_add_u32_e32 v4, v4, v3
	s_waitcnt vmcnt(0)
	v_add_co_u32_e32 v3, vcc, v7, v1
	v_addc_co_u32_e32 v4, vcc, v8, v4, vcc
	global_load_dwordx2 v[7:8], v[3:4], off glc
	s_waitcnt vmcnt(0)
	global_atomic_cmpswap_x2 v[3:4], v2, v[7:10], s[34:35] offset:24 glc
	s_waitcnt vmcnt(0)
	buffer_wbinvl1_vol
	v_cmp_ne_u64_e32 vcc, v[3:4], v[9:10]
	s_and_saveexec_b64 s[36:37], vcc
	s_cbranch_execz .LBB2_619
; %bb.616:                              ;   in Loop: Header=BB2_448 Depth=1
	s_mov_b64 s[38:39], 0
.LBB2_617:                              ;   Parent Loop BB2_448 Depth=1
                                        ; =>  This Inner Loop Header: Depth=2
	s_sleep 1
	global_load_dwordx2 v[7:8], v2, s[34:35] offset:40
	global_load_dwordx2 v[11:12], v2, s[34:35]
	v_mov_b32_e32 v10, v4
	v_mov_b32_e32 v9, v3
	s_waitcnt vmcnt(1)
	v_and_b32_e32 v1, v7, v9
	s_waitcnt vmcnt(0)
	v_mad_u64_u32 v[3:4], s[40:41], v1, 24, v[11:12]
	v_and_b32_e32 v7, v8, v10
	v_mov_b32_e32 v1, v4
	v_mad_u64_u32 v[7:8], s[40:41], v7, 24, v[1:2]
	v_mov_b32_e32 v4, v7
	global_load_dwordx2 v[7:8], v[3:4], off glc
	s_waitcnt vmcnt(0)
	global_atomic_cmpswap_x2 v[3:4], v2, v[7:10], s[34:35] offset:24 glc
	s_waitcnt vmcnt(0)
	buffer_wbinvl1_vol
	v_cmp_eq_u64_e32 vcc, v[3:4], v[9:10]
	s_or_b64 s[38:39], vcc, s[38:39]
	s_andn2_b64 exec, exec, s[38:39]
	s_cbranch_execnz .LBB2_617
; %bb.618:                              ;   in Loop: Header=BB2_448 Depth=1
	s_or_b64 exec, exec, s[38:39]
.LBB2_619:                              ;   in Loop: Header=BB2_448 Depth=1
	s_or_b64 exec, exec, s[36:37]
.LBB2_620:                              ;   in Loop: Header=BB2_448 Depth=1
	s_or_b64 exec, exec, s[24:25]
	global_load_dwordx2 v[11:12], v2, s[34:35] offset:40
	global_load_dwordx4 v[7:10], v2, s[34:35]
	v_readfirstlane_b32 s25, v4
	v_readfirstlane_b32 s24, v3
	s_mov_b64 s[36:37], exec
	s_waitcnt vmcnt(1)
	v_readfirstlane_b32 s38, v11
	v_readfirstlane_b32 s39, v12
	s_and_b64 s[38:39], s[38:39], s[24:25]
	s_mul_i32 s40, s39, 24
	s_mul_hi_u32 s41, s38, 24
	s_mul_i32 s42, s38, 24
	s_add_i32 s40, s41, s40
	v_mov_b32_e32 v1, s40
	s_waitcnt vmcnt(0)
	v_add_co_u32_e32 v11, vcc, s42, v7
	v_addc_co_u32_e32 v12, vcc, v8, v1, vcc
	s_and_saveexec_b64 s[40:41], s[4:5]
	s_cbranch_execz .LBB2_622
; %bb.621:                              ;   in Loop: Header=BB2_448 Depth=1
	v_mov_b32_e32 v3, s36
	v_mov_b32_e32 v4, s37
	global_store_dwordx4 v[11:12], v[3:6], off offset:8
.LBB2_622:                              ;   in Loop: Header=BB2_448 Depth=1
	s_or_b64 exec, exec, s[40:41]
	s_lshl_b64 s[36:37], s[38:39], 12
	v_mov_b32_e32 v1, s37
	v_add_co_u32_e32 v13, vcc, s36, v9
	v_addc_co_u32_e32 v14, vcc, v10, v1, vcc
	v_mov_b32_e32 v18, s15
	v_mov_b32_e32 v1, v2
	;; [unrolled: 1-line block ×3, first 2 shown]
	v_readfirstlane_b32 s36, v13
	v_readfirstlane_b32 s37, v14
	v_mov_b32_e32 v17, s14
	v_mov_b32_e32 v16, s13
	v_mov_b32_e32 v15, s12
	s_nop 1
	global_store_dwordx4 v37, v[0:3], s[36:37]
	global_store_dwordx4 v37, v[15:18], s[36:37] offset:16
	global_store_dwordx4 v37, v[15:18], s[36:37] offset:32
	;; [unrolled: 1-line block ×3, first 2 shown]
	s_and_saveexec_b64 s[36:37], s[4:5]
	s_cbranch_execz .LBB2_630
; %bb.623:                              ;   in Loop: Header=BB2_448 Depth=1
	global_load_dwordx2 v[17:18], v2, s[34:35] offset:32 glc
	global_load_dwordx2 v[3:4], v2, s[34:35] offset:40
	v_mov_b32_e32 v15, s24
	v_mov_b32_e32 v16, s25
	s_waitcnt vmcnt(0)
	v_readfirstlane_b32 s38, v3
	v_readfirstlane_b32 s39, v4
	s_and_b64 s[38:39], s[38:39], s[24:25]
	s_mul_i32 s39, s39, 24
	s_mul_hi_u32 s40, s38, 24
	s_mul_i32 s38, s38, 24
	s_add_i32 s39, s40, s39
	v_mov_b32_e32 v1, s39
	v_add_co_u32_e32 v3, vcc, s38, v7
	v_addc_co_u32_e32 v4, vcc, v8, v1, vcc
	global_store_dwordx2 v[3:4], v[17:18], off
	s_waitcnt vmcnt(0)
	global_atomic_cmpswap_x2 v[9:10], v2, v[15:18], s[34:35] offset:32 glc
	s_waitcnt vmcnt(0)
	v_cmp_ne_u64_e32 vcc, v[9:10], v[17:18]
	s_and_saveexec_b64 s[38:39], vcc
	s_cbranch_execz .LBB2_626
; %bb.624:                              ;   in Loop: Header=BB2_448 Depth=1
	s_mov_b64 s[40:41], 0
.LBB2_625:                              ;   Parent Loop BB2_448 Depth=1
                                        ; =>  This Inner Loop Header: Depth=2
	s_sleep 1
	global_store_dwordx2 v[3:4], v[9:10], off
	v_mov_b32_e32 v7, s24
	v_mov_b32_e32 v8, s25
	s_waitcnt vmcnt(0)
	global_atomic_cmpswap_x2 v[7:8], v2, v[7:10], s[34:35] offset:32 glc
	s_waitcnt vmcnt(0)
	v_cmp_eq_u64_e32 vcc, v[7:8], v[9:10]
	v_mov_b32_e32 v10, v8
	s_or_b64 s[40:41], vcc, s[40:41]
	v_mov_b32_e32 v9, v7
	s_andn2_b64 exec, exec, s[40:41]
	s_cbranch_execnz .LBB2_625
.LBB2_626:                              ;   in Loop: Header=BB2_448 Depth=1
	s_or_b64 exec, exec, s[38:39]
	global_load_dwordx2 v[3:4], v2, s[34:35] offset:16
	s_mov_b64 s[40:41], exec
	v_mbcnt_lo_u32_b32 v1, s40, 0
	v_mbcnt_hi_u32_b32 v1, s41, v1
	v_cmp_eq_u32_e32 vcc, 0, v1
	s_and_saveexec_b64 s[38:39], vcc
	s_cbranch_execz .LBB2_628
; %bb.627:                              ;   in Loop: Header=BB2_448 Depth=1
	s_bcnt1_i32_b64 s40, s[40:41]
	v_mov_b32_e32 v1, s40
	s_waitcnt vmcnt(0)
	global_atomic_add_x2 v[3:4], v[1:2], off offset:8
.LBB2_628:                              ;   in Loop: Header=BB2_448 Depth=1
	s_or_b64 exec, exec, s[38:39]
	s_waitcnt vmcnt(0)
	global_load_dwordx2 v[7:8], v[3:4], off offset:16
	s_waitcnt vmcnt(0)
	v_cmp_eq_u64_e32 vcc, 0, v[7:8]
	s_cbranch_vccnz .LBB2_630
; %bb.629:                              ;   in Loop: Header=BB2_448 Depth=1
	global_load_dword v1, v[3:4], off offset:24
	s_waitcnt vmcnt(0)
	v_readfirstlane_b32 s38, v1
	s_and_b32 m0, s38, 0xffffff
	global_store_dwordx2 v[7:8], v[1:2], off
	s_sendmsg sendmsg(MSG_INTERRUPT)
.LBB2_630:                              ;   in Loop: Header=BB2_448 Depth=1
	s_or_b64 exec, exec, s[36:37]
	v_add_co_u32_e32 v3, vcc, v13, v37
	v_addc_co_u32_e32 v4, vcc, 0, v14, vcc
	s_branch .LBB2_634
.LBB2_631:                              ;   in Loop: Header=BB2_634 Depth=2
	s_or_b64 exec, exec, s[36:37]
	v_readfirstlane_b32 s36, v1
	s_cmp_eq_u32 s36, 0
	s_cbranch_scc1 .LBB2_633
; %bb.632:                              ;   in Loop: Header=BB2_634 Depth=2
	s_sleep 1
	s_cbranch_execnz .LBB2_634
	s_branch .LBB2_636
.LBB2_633:                              ;   in Loop: Header=BB2_448 Depth=1
	s_branch .LBB2_636
.LBB2_634:                              ;   Parent Loop BB2_448 Depth=1
                                        ; =>  This Inner Loop Header: Depth=2
	v_mov_b32_e32 v1, 1
	s_and_saveexec_b64 s[36:37], s[4:5]
	s_cbranch_execz .LBB2_631
; %bb.635:                              ;   in Loop: Header=BB2_634 Depth=2
	global_load_dword v1, v[11:12], off offset:20 glc
	s_waitcnt vmcnt(0)
	buffer_wbinvl1_vol
	v_and_b32_e32 v1, 1, v1
	s_branch .LBB2_631
.LBB2_636:                              ;   in Loop: Header=BB2_448 Depth=1
	global_load_dwordx2 v[11:12], v[3:4], off
	s_and_saveexec_b64 s[36:37], s[4:5]
	s_cbranch_execz .LBB2_640
; %bb.637:                              ;   in Loop: Header=BB2_448 Depth=1
	global_load_dwordx2 v[3:4], v2, s[34:35] offset:40
	global_load_dwordx2 v[15:16], v2, s[34:35] offset:24 glc
	global_load_dwordx2 v[7:8], v2, s[34:35]
	s_waitcnt vmcnt(2)
	v_readfirstlane_b32 s38, v3
	v_readfirstlane_b32 s39, v4
	s_add_u32 s40, s38, 1
	s_addc_u32 s41, s39, 0
	s_add_u32 s4, s40, s24
	s_addc_u32 s5, s41, s25
	s_cmp_eq_u64 s[4:5], 0
	s_cselect_b32 s5, s41, s5
	s_cselect_b32 s4, s40, s4
	s_and_b64 s[24:25], s[4:5], s[38:39]
	s_mul_i32 s25, s25, 24
	s_mul_hi_u32 s38, s24, 24
	s_mul_i32 s24, s24, 24
	s_add_i32 s25, s38, s25
	v_mov_b32_e32 v1, s25
	s_waitcnt vmcnt(0)
	v_add_co_u32_e32 v3, vcc, s24, v7
	v_addc_co_u32_e32 v4, vcc, v8, v1, vcc
	v_mov_b32_e32 v13, s4
	global_store_dwordx2 v[3:4], v[15:16], off
	v_mov_b32_e32 v14, s5
	s_waitcnt vmcnt(0)
	global_atomic_cmpswap_x2 v[9:10], v2, v[13:16], s[34:35] offset:24 glc
	s_waitcnt vmcnt(0)
	v_cmp_ne_u64_e32 vcc, v[9:10], v[15:16]
	s_and_b64 exec, exec, vcc
	s_cbranch_execz .LBB2_640
; %bb.638:                              ;   in Loop: Header=BB2_448 Depth=1
	s_mov_b64 s[24:25], 0
.LBB2_639:                              ;   Parent Loop BB2_448 Depth=1
                                        ; =>  This Inner Loop Header: Depth=2
	s_sleep 1
	global_store_dwordx2 v[3:4], v[9:10], off
	v_mov_b32_e32 v7, s4
	v_mov_b32_e32 v8, s5
	s_waitcnt vmcnt(0)
	global_atomic_cmpswap_x2 v[7:8], v2, v[7:10], s[34:35] offset:24 glc
	s_waitcnt vmcnt(0)
	v_cmp_eq_u64_e32 vcc, v[7:8], v[9:10]
	v_mov_b32_e32 v10, v8
	s_or_b64 s[24:25], vcc, s[24:25]
	v_mov_b32_e32 v9, v7
	s_andn2_b64 exec, exec, s[24:25]
	s_cbranch_execnz .LBB2_639
.LBB2_640:                              ;   in Loop: Header=BB2_448 Depth=1
	s_or_b64 exec, exec, s[36:37]
	s_and_b64 vcc, exec, s[18:19]
	s_cbranch_vccz .LBB2_726
; %bb.641:                              ;   in Loop: Header=BB2_448 Depth=1
	s_waitcnt vmcnt(0)
	v_and_b32_e32 v7, -3, v11
	v_mov_b32_e32 v8, v12
	s_mov_b64 s[36:37], 6
	s_getpc_b64 s[24:25]
	s_add_u32 s24, s24, .str.2@rel32@lo+4
	s_addc_u32 s25, s25, .str.2@rel32@hi+12
	s_branch .LBB2_643
.LBB2_642:                              ;   in Loop: Header=BB2_643 Depth=2
	s_or_b64 exec, exec, s[42:43]
	s_sub_u32 s36, s36, s38
	s_subb_u32 s37, s37, s39
	s_add_u32 s24, s24, s38
	s_addc_u32 s25, s25, s39
	s_cmp_lg_u64 s[36:37], 0
	s_cbranch_scc0 .LBB2_725
.LBB2_643:                              ;   Parent Loop BB2_448 Depth=1
                                        ; =>  This Loop Header: Depth=2
                                        ;       Child Loop BB2_646 Depth 3
                                        ;       Child Loop BB2_654 Depth 3
	;; [unrolled: 1-line block ×11, first 2 shown]
	v_cmp_lt_u64_e64 s[4:5], s[36:37], 56
	v_cmp_gt_u64_e64 s[40:41], s[36:37], 7
	s_and_b64 s[4:5], s[4:5], exec
	s_cselect_b32 s39, s37, 0
	s_cselect_b32 s38, s36, 56
	s_add_u32 s4, s24, 8
	s_addc_u32 s5, s25, 0
	s_and_b64 vcc, exec, s[40:41]
	s_cbranch_vccnz .LBB2_647
; %bb.644:                              ;   in Loop: Header=BB2_643 Depth=2
	s_cmp_eq_u64 s[36:37], 0
	s_cbranch_scc1 .LBB2_648
; %bb.645:                              ;   in Loop: Header=BB2_643 Depth=2
	v_mov_b32_e32 v9, 0
	s_lshl_b64 s[4:5], s[38:39], 3
	s_mov_b64 s[40:41], 0
	v_mov_b32_e32 v10, 0
	s_mov_b64 s[42:43], s[24:25]
.LBB2_646:                              ;   Parent Loop BB2_448 Depth=1
                                        ;     Parent Loop BB2_643 Depth=2
                                        ; =>    This Inner Loop Header: Depth=3
	global_load_ubyte v1, v2, s[42:43]
	s_waitcnt vmcnt(0)
	v_and_b32_e32 v1, 0xffff, v1
	v_lshlrev_b64 v[3:4], s40, v[1:2]
	s_add_u32 s40, s40, 8
	s_addc_u32 s41, s41, 0
	s_add_u32 s42, s42, 1
	s_addc_u32 s43, s43, 0
	v_or_b32_e32 v9, v3, v9
	s_cmp_lg_u32 s4, s40
	v_or_b32_e32 v10, v4, v10
	s_cbranch_scc1 .LBB2_646
	s_branch .LBB2_649
.LBB2_647:                              ;   in Loop: Header=BB2_643 Depth=2
	s_mov_b32 s44, 0
	s_branch .LBB2_650
.LBB2_648:                              ;   in Loop: Header=BB2_643 Depth=2
	v_mov_b32_e32 v9, 0
	v_mov_b32_e32 v10, 0
.LBB2_649:                              ;   in Loop: Header=BB2_643 Depth=2
	s_mov_b64 s[4:5], s[24:25]
	s_mov_b32 s44, 0
	s_cbranch_execnz .LBB2_651
.LBB2_650:                              ;   in Loop: Header=BB2_643 Depth=2
	global_load_dwordx2 v[9:10], v2, s[24:25]
	s_add_i32 s44, s38, -8
.LBB2_651:                              ;   in Loop: Header=BB2_643 Depth=2
	s_add_u32 s40, s4, 8
	s_addc_u32 s41, s5, 0
	s_cmp_gt_u32 s44, 7
	s_cbranch_scc1 .LBB2_655
; %bb.652:                              ;   in Loop: Header=BB2_643 Depth=2
	s_cmp_eq_u32 s44, 0
	s_cbranch_scc1 .LBB2_656
; %bb.653:                              ;   in Loop: Header=BB2_643 Depth=2
	v_mov_b32_e32 v13, 0
	s_mov_b64 s[40:41], 0
	v_mov_b32_e32 v14, 0
	s_mov_b64 s[42:43], 0
.LBB2_654:                              ;   Parent Loop BB2_448 Depth=1
                                        ;     Parent Loop BB2_643 Depth=2
                                        ; =>    This Inner Loop Header: Depth=3
	s_add_u32 s46, s4, s42
	s_addc_u32 s47, s5, s43
	global_load_ubyte v1, v2, s[46:47]
	s_add_u32 s42, s42, 1
	s_addc_u32 s43, s43, 0
	s_waitcnt vmcnt(0)
	v_and_b32_e32 v1, 0xffff, v1
	v_lshlrev_b64 v[3:4], s40, v[1:2]
	s_add_u32 s40, s40, 8
	s_addc_u32 s41, s41, 0
	v_or_b32_e32 v13, v3, v13
	s_cmp_lg_u32 s44, s42
	v_or_b32_e32 v14, v4, v14
	s_cbranch_scc1 .LBB2_654
	s_branch .LBB2_657
.LBB2_655:                              ;   in Loop: Header=BB2_643 Depth=2
                                        ; implicit-def: $vgpr13_vgpr14
	s_mov_b32 s45, 0
	s_branch .LBB2_658
.LBB2_656:                              ;   in Loop: Header=BB2_643 Depth=2
	v_mov_b32_e32 v13, 0
	v_mov_b32_e32 v14, 0
.LBB2_657:                              ;   in Loop: Header=BB2_643 Depth=2
	s_mov_b64 s[40:41], s[4:5]
	s_mov_b32 s45, 0
	s_cbranch_execnz .LBB2_659
.LBB2_658:                              ;   in Loop: Header=BB2_643 Depth=2
	global_load_dwordx2 v[13:14], v2, s[4:5]
	s_add_i32 s45, s44, -8
.LBB2_659:                              ;   in Loop: Header=BB2_643 Depth=2
	s_add_u32 s4, s40, 8
	s_addc_u32 s5, s41, 0
	s_cmp_gt_u32 s45, 7
	s_cbranch_scc1 .LBB2_663
; %bb.660:                              ;   in Loop: Header=BB2_643 Depth=2
	s_cmp_eq_u32 s45, 0
	s_cbranch_scc1 .LBB2_664
; %bb.661:                              ;   in Loop: Header=BB2_643 Depth=2
	v_mov_b32_e32 v15, 0
	s_mov_b64 s[4:5], 0
	v_mov_b32_e32 v16, 0
	s_mov_b64 s[42:43], 0
.LBB2_662:                              ;   Parent Loop BB2_448 Depth=1
                                        ;     Parent Loop BB2_643 Depth=2
                                        ; =>    This Inner Loop Header: Depth=3
	s_add_u32 s46, s40, s42
	s_addc_u32 s47, s41, s43
	global_load_ubyte v1, v2, s[46:47]
	s_add_u32 s42, s42, 1
	s_addc_u32 s43, s43, 0
	s_waitcnt vmcnt(0)
	v_and_b32_e32 v1, 0xffff, v1
	v_lshlrev_b64 v[3:4], s4, v[1:2]
	s_add_u32 s4, s4, 8
	s_addc_u32 s5, s5, 0
	v_or_b32_e32 v15, v3, v15
	s_cmp_lg_u32 s45, s42
	v_or_b32_e32 v16, v4, v16
	s_cbranch_scc1 .LBB2_662
	s_branch .LBB2_665
.LBB2_663:                              ;   in Loop: Header=BB2_643 Depth=2
	s_mov_b32 s44, 0
	s_branch .LBB2_666
.LBB2_664:                              ;   in Loop: Header=BB2_643 Depth=2
	v_mov_b32_e32 v15, 0
	v_mov_b32_e32 v16, 0
.LBB2_665:                              ;   in Loop: Header=BB2_643 Depth=2
	s_mov_b64 s[4:5], s[40:41]
	s_mov_b32 s44, 0
	s_cbranch_execnz .LBB2_667
.LBB2_666:                              ;   in Loop: Header=BB2_643 Depth=2
	global_load_dwordx2 v[15:16], v2, s[40:41]
	s_add_i32 s44, s45, -8
.LBB2_667:                              ;   in Loop: Header=BB2_643 Depth=2
	s_add_u32 s40, s4, 8
	s_addc_u32 s41, s5, 0
	s_cmp_gt_u32 s44, 7
	s_cbranch_scc1 .LBB2_671
; %bb.668:                              ;   in Loop: Header=BB2_643 Depth=2
	s_cmp_eq_u32 s44, 0
	s_cbranch_scc1 .LBB2_672
; %bb.669:                              ;   in Loop: Header=BB2_643 Depth=2
	v_mov_b32_e32 v17, 0
	s_mov_b64 s[40:41], 0
	v_mov_b32_e32 v18, 0
	s_mov_b64 s[42:43], 0
.LBB2_670:                              ;   Parent Loop BB2_448 Depth=1
                                        ;     Parent Loop BB2_643 Depth=2
                                        ; =>    This Inner Loop Header: Depth=3
	s_add_u32 s46, s4, s42
	s_addc_u32 s47, s5, s43
	global_load_ubyte v1, v2, s[46:47]
	s_add_u32 s42, s42, 1
	s_addc_u32 s43, s43, 0
	s_waitcnt vmcnt(0)
	v_and_b32_e32 v1, 0xffff, v1
	v_lshlrev_b64 v[3:4], s40, v[1:2]
	s_add_u32 s40, s40, 8
	s_addc_u32 s41, s41, 0
	v_or_b32_e32 v17, v3, v17
	s_cmp_lg_u32 s44, s42
	v_or_b32_e32 v18, v4, v18
	s_cbranch_scc1 .LBB2_670
	s_branch .LBB2_673
.LBB2_671:                              ;   in Loop: Header=BB2_643 Depth=2
                                        ; implicit-def: $vgpr17_vgpr18
	s_mov_b32 s45, 0
	s_branch .LBB2_674
.LBB2_672:                              ;   in Loop: Header=BB2_643 Depth=2
	v_mov_b32_e32 v17, 0
	v_mov_b32_e32 v18, 0
.LBB2_673:                              ;   in Loop: Header=BB2_643 Depth=2
	s_mov_b64 s[40:41], s[4:5]
	s_mov_b32 s45, 0
	s_cbranch_execnz .LBB2_675
.LBB2_674:                              ;   in Loop: Header=BB2_643 Depth=2
	global_load_dwordx2 v[17:18], v2, s[4:5]
	s_add_i32 s45, s44, -8
.LBB2_675:                              ;   in Loop: Header=BB2_643 Depth=2
	s_add_u32 s4, s40, 8
	s_addc_u32 s5, s41, 0
	s_cmp_gt_u32 s45, 7
	s_cbranch_scc1 .LBB2_679
; %bb.676:                              ;   in Loop: Header=BB2_643 Depth=2
	s_cmp_eq_u32 s45, 0
	s_cbranch_scc1 .LBB2_680
; %bb.677:                              ;   in Loop: Header=BB2_643 Depth=2
	v_mov_b32_e32 v19, 0
	s_mov_b64 s[4:5], 0
	v_mov_b32_e32 v20, 0
	s_mov_b64 s[42:43], 0
.LBB2_678:                              ;   Parent Loop BB2_448 Depth=1
                                        ;     Parent Loop BB2_643 Depth=2
                                        ; =>    This Inner Loop Header: Depth=3
	s_add_u32 s46, s40, s42
	s_addc_u32 s47, s41, s43
	global_load_ubyte v1, v2, s[46:47]
	s_add_u32 s42, s42, 1
	s_addc_u32 s43, s43, 0
	s_waitcnt vmcnt(0)
	v_and_b32_e32 v1, 0xffff, v1
	v_lshlrev_b64 v[3:4], s4, v[1:2]
	s_add_u32 s4, s4, 8
	s_addc_u32 s5, s5, 0
	v_or_b32_e32 v19, v3, v19
	s_cmp_lg_u32 s45, s42
	v_or_b32_e32 v20, v4, v20
	s_cbranch_scc1 .LBB2_678
	s_branch .LBB2_681
.LBB2_679:                              ;   in Loop: Header=BB2_643 Depth=2
	s_mov_b32 s44, 0
	s_branch .LBB2_682
.LBB2_680:                              ;   in Loop: Header=BB2_643 Depth=2
	v_mov_b32_e32 v19, 0
	v_mov_b32_e32 v20, 0
.LBB2_681:                              ;   in Loop: Header=BB2_643 Depth=2
	s_mov_b64 s[4:5], s[40:41]
	s_mov_b32 s44, 0
	s_cbranch_execnz .LBB2_683
.LBB2_682:                              ;   in Loop: Header=BB2_643 Depth=2
	global_load_dwordx2 v[19:20], v2, s[40:41]
	s_add_i32 s44, s45, -8
.LBB2_683:                              ;   in Loop: Header=BB2_643 Depth=2
	s_add_u32 s40, s4, 8
	s_addc_u32 s41, s5, 0
	s_cmp_gt_u32 s44, 7
	s_cbranch_scc1 .LBB2_687
; %bb.684:                              ;   in Loop: Header=BB2_643 Depth=2
	s_cmp_eq_u32 s44, 0
	s_cbranch_scc1 .LBB2_688
; %bb.685:                              ;   in Loop: Header=BB2_643 Depth=2
	v_mov_b32_e32 v21, 0
	s_mov_b64 s[40:41], 0
	v_mov_b32_e32 v22, 0
	s_mov_b64 s[42:43], 0
.LBB2_686:                              ;   Parent Loop BB2_448 Depth=1
                                        ;     Parent Loop BB2_643 Depth=2
                                        ; =>    This Inner Loop Header: Depth=3
	s_add_u32 s46, s4, s42
	s_addc_u32 s47, s5, s43
	global_load_ubyte v1, v2, s[46:47]
	s_add_u32 s42, s42, 1
	s_addc_u32 s43, s43, 0
	s_waitcnt vmcnt(0)
	v_and_b32_e32 v1, 0xffff, v1
	v_lshlrev_b64 v[3:4], s40, v[1:2]
	s_add_u32 s40, s40, 8
	s_addc_u32 s41, s41, 0
	v_or_b32_e32 v21, v3, v21
	s_cmp_lg_u32 s44, s42
	v_or_b32_e32 v22, v4, v22
	s_cbranch_scc1 .LBB2_686
	s_branch .LBB2_689
.LBB2_687:                              ;   in Loop: Header=BB2_643 Depth=2
                                        ; implicit-def: $vgpr21_vgpr22
	s_mov_b32 s45, 0
	s_branch .LBB2_690
.LBB2_688:                              ;   in Loop: Header=BB2_643 Depth=2
	v_mov_b32_e32 v21, 0
	v_mov_b32_e32 v22, 0
.LBB2_689:                              ;   in Loop: Header=BB2_643 Depth=2
	s_mov_b64 s[40:41], s[4:5]
	s_mov_b32 s45, 0
	s_cbranch_execnz .LBB2_691
.LBB2_690:                              ;   in Loop: Header=BB2_643 Depth=2
	global_load_dwordx2 v[21:22], v2, s[4:5]
	s_add_i32 s45, s44, -8
.LBB2_691:                              ;   in Loop: Header=BB2_643 Depth=2
	s_cmp_gt_u32 s45, 7
	s_cbranch_scc1 .LBB2_695
; %bb.692:                              ;   in Loop: Header=BB2_643 Depth=2
	s_cmp_eq_u32 s45, 0
	s_cbranch_scc1 .LBB2_696
; %bb.693:                              ;   in Loop: Header=BB2_643 Depth=2
	v_mov_b32_e32 v23, 0
	s_mov_b64 s[4:5], 0
	v_mov_b32_e32 v24, 0
	s_mov_b64 s[42:43], s[40:41]
.LBB2_694:                              ;   Parent Loop BB2_448 Depth=1
                                        ;     Parent Loop BB2_643 Depth=2
                                        ; =>    This Inner Loop Header: Depth=3
	global_load_ubyte v1, v2, s[42:43]
	s_add_i32 s45, s45, -1
	s_waitcnt vmcnt(0)
	v_and_b32_e32 v1, 0xffff, v1
	v_lshlrev_b64 v[3:4], s4, v[1:2]
	s_add_u32 s4, s4, 8
	s_addc_u32 s5, s5, 0
	s_add_u32 s42, s42, 1
	s_addc_u32 s43, s43, 0
	v_or_b32_e32 v23, v3, v23
	s_cmp_lg_u32 s45, 0
	v_or_b32_e32 v24, v4, v24
	s_cbranch_scc1 .LBB2_694
	s_branch .LBB2_697
.LBB2_695:                              ;   in Loop: Header=BB2_643 Depth=2
	s_branch .LBB2_698
.LBB2_696:                              ;   in Loop: Header=BB2_643 Depth=2
	v_mov_b32_e32 v23, 0
	v_mov_b32_e32 v24, 0
.LBB2_697:                              ;   in Loop: Header=BB2_643 Depth=2
	s_cbranch_execnz .LBB2_699
.LBB2_698:                              ;   in Loop: Header=BB2_643 Depth=2
	global_load_dwordx2 v[23:24], v2, s[40:41]
.LBB2_699:                              ;   in Loop: Header=BB2_643 Depth=2
	v_readfirstlane_b32 s4, v38
	v_mov_b32_e32 v3, 0
	v_mov_b32_e32 v4, 0
	v_cmp_eq_u32_e64 s[4:5], s4, v38
	s_and_saveexec_b64 s[40:41], s[4:5]
	s_cbranch_execz .LBB2_705
; %bb.700:                              ;   in Loop: Header=BB2_643 Depth=2
	global_load_dwordx2 v[27:28], v2, s[34:35] offset:24 glc
	s_waitcnt vmcnt(0)
	buffer_wbinvl1_vol
	global_load_dwordx2 v[3:4], v2, s[34:35] offset:40
	global_load_dwordx2 v[25:26], v2, s[34:35]
	s_waitcnt vmcnt(1)
	v_and_b32_e32 v1, v3, v27
	v_and_b32_e32 v3, v4, v28
	v_mul_lo_u32 v3, v3, 24
	v_mul_hi_u32 v4, v1, 24
	v_mul_lo_u32 v1, v1, 24
	v_add_u32_e32 v4, v4, v3
	s_waitcnt vmcnt(0)
	v_add_co_u32_e32 v3, vcc, v25, v1
	v_addc_co_u32_e32 v4, vcc, v26, v4, vcc
	global_load_dwordx2 v[25:26], v[3:4], off glc
	s_waitcnt vmcnt(0)
	global_atomic_cmpswap_x2 v[3:4], v2, v[25:28], s[34:35] offset:24 glc
	s_waitcnt vmcnt(0)
	buffer_wbinvl1_vol
	v_cmp_ne_u64_e32 vcc, v[3:4], v[27:28]
	s_and_saveexec_b64 s[42:43], vcc
	s_cbranch_execz .LBB2_704
; %bb.701:                              ;   in Loop: Header=BB2_643 Depth=2
	s_mov_b64 s[44:45], 0
.LBB2_702:                              ;   Parent Loop BB2_448 Depth=1
                                        ;     Parent Loop BB2_643 Depth=2
                                        ; =>    This Inner Loop Header: Depth=3
	s_sleep 1
	global_load_dwordx2 v[25:26], v2, s[34:35] offset:40
	global_load_dwordx2 v[29:30], v2, s[34:35]
	v_mov_b32_e32 v28, v4
	v_mov_b32_e32 v27, v3
	s_waitcnt vmcnt(1)
	v_and_b32_e32 v1, v25, v27
	s_waitcnt vmcnt(0)
	v_mad_u64_u32 v[3:4], s[46:47], v1, 24, v[29:30]
	v_and_b32_e32 v25, v26, v28
	v_mov_b32_e32 v1, v4
	v_mad_u64_u32 v[25:26], s[46:47], v25, 24, v[1:2]
	v_mov_b32_e32 v4, v25
	global_load_dwordx2 v[25:26], v[3:4], off glc
	s_waitcnt vmcnt(0)
	global_atomic_cmpswap_x2 v[3:4], v2, v[25:28], s[34:35] offset:24 glc
	s_waitcnt vmcnt(0)
	buffer_wbinvl1_vol
	v_cmp_eq_u64_e32 vcc, v[3:4], v[27:28]
	s_or_b64 s[44:45], vcc, s[44:45]
	s_andn2_b64 exec, exec, s[44:45]
	s_cbranch_execnz .LBB2_702
; %bb.703:                              ;   in Loop: Header=BB2_643 Depth=2
	s_or_b64 exec, exec, s[44:45]
.LBB2_704:                              ;   in Loop: Header=BB2_643 Depth=2
	s_or_b64 exec, exec, s[42:43]
.LBB2_705:                              ;   in Loop: Header=BB2_643 Depth=2
	s_or_b64 exec, exec, s[40:41]
	global_load_dwordx2 v[29:30], v2, s[34:35] offset:40
	global_load_dwordx4 v[25:28], v2, s[34:35]
	v_readfirstlane_b32 s41, v4
	v_readfirstlane_b32 s40, v3
	s_mov_b64 s[42:43], exec
	s_waitcnt vmcnt(1)
	v_readfirstlane_b32 s44, v29
	v_readfirstlane_b32 s45, v30
	s_and_b64 s[44:45], s[44:45], s[40:41]
	s_mul_i32 s46, s45, 24
	s_mul_hi_u32 s47, s44, 24
	s_mul_i32 s49, s44, 24
	s_add_i32 s46, s47, s46
	v_mov_b32_e32 v1, s46
	s_waitcnt vmcnt(0)
	v_add_co_u32_e32 v29, vcc, s49, v25
	v_addc_co_u32_e32 v30, vcc, v26, v1, vcc
	s_and_saveexec_b64 s[46:47], s[4:5]
	s_cbranch_execz .LBB2_707
; %bb.706:                              ;   in Loop: Header=BB2_643 Depth=2
	v_mov_b32_e32 v3, s42
	v_mov_b32_e32 v4, s43
	global_store_dwordx4 v[29:30], v[3:6], off offset:8
.LBB2_707:                              ;   in Loop: Header=BB2_643 Depth=2
	s_or_b64 exec, exec, s[46:47]
	s_lshl_b64 s[42:43], s[44:45], 12
	v_mov_b32_e32 v1, s43
	v_add_co_u32_e32 v27, vcc, s42, v27
	v_addc_co_u32_e32 v28, vcc, v28, v1, vcc
	v_cmp_lt_u64_e64 vcc, s[36:37], 57
	v_and_b32_e32 v1, 2, v11
	s_lshl_b32 s42, s38, 2
	v_cndmask_b32_e32 v1, 0, v1, vcc
	s_add_i32 s42, s42, 28
	v_and_b32_e32 v3, 0xffffff1f, v7
	s_and_b32 s42, s42, 0x1e0
	v_or_b32_e32 v1, v3, v1
	v_or_b32_e32 v7, s42, v1
	v_readfirstlane_b32 s42, v27
	v_readfirstlane_b32 s43, v28
	s_nop 4
	global_store_dwordx4 v37, v[7:10], s[42:43]
	global_store_dwordx4 v37, v[13:16], s[42:43] offset:16
	global_store_dwordx4 v37, v[17:20], s[42:43] offset:32
	;; [unrolled: 1-line block ×3, first 2 shown]
	s_and_saveexec_b64 s[42:43], s[4:5]
	s_cbranch_execz .LBB2_715
; %bb.708:                              ;   in Loop: Header=BB2_643 Depth=2
	global_load_dwordx2 v[15:16], v2, s[34:35] offset:32 glc
	global_load_dwordx2 v[3:4], v2, s[34:35] offset:40
	v_mov_b32_e32 v13, s40
	v_mov_b32_e32 v14, s41
	s_waitcnt vmcnt(0)
	v_readfirstlane_b32 s44, v3
	v_readfirstlane_b32 s45, v4
	s_and_b64 s[44:45], s[44:45], s[40:41]
	s_mul_i32 s45, s45, 24
	s_mul_hi_u32 s46, s44, 24
	s_mul_i32 s44, s44, 24
	s_add_i32 s45, s46, s45
	v_mov_b32_e32 v1, s45
	v_add_co_u32_e32 v3, vcc, s44, v25
	v_addc_co_u32_e32 v4, vcc, v26, v1, vcc
	global_store_dwordx2 v[3:4], v[15:16], off
	s_waitcnt vmcnt(0)
	global_atomic_cmpswap_x2 v[9:10], v2, v[13:16], s[34:35] offset:32 glc
	s_waitcnt vmcnt(0)
	v_cmp_ne_u64_e32 vcc, v[9:10], v[15:16]
	s_and_saveexec_b64 s[44:45], vcc
	s_cbranch_execz .LBB2_711
; %bb.709:                              ;   in Loop: Header=BB2_643 Depth=2
	s_mov_b64 s[46:47], 0
.LBB2_710:                              ;   Parent Loop BB2_448 Depth=1
                                        ;     Parent Loop BB2_643 Depth=2
                                        ; =>    This Inner Loop Header: Depth=3
	s_sleep 1
	global_store_dwordx2 v[3:4], v[9:10], off
	v_mov_b32_e32 v7, s40
	v_mov_b32_e32 v8, s41
	s_waitcnt vmcnt(0)
	global_atomic_cmpswap_x2 v[7:8], v2, v[7:10], s[34:35] offset:32 glc
	s_waitcnt vmcnt(0)
	v_cmp_eq_u64_e32 vcc, v[7:8], v[9:10]
	v_mov_b32_e32 v10, v8
	s_or_b64 s[46:47], vcc, s[46:47]
	v_mov_b32_e32 v9, v7
	s_andn2_b64 exec, exec, s[46:47]
	s_cbranch_execnz .LBB2_710
.LBB2_711:                              ;   in Loop: Header=BB2_643 Depth=2
	s_or_b64 exec, exec, s[44:45]
	global_load_dwordx2 v[3:4], v2, s[34:35] offset:16
	s_mov_b64 s[46:47], exec
	v_mbcnt_lo_u32_b32 v1, s46, 0
	v_mbcnt_hi_u32_b32 v1, s47, v1
	v_cmp_eq_u32_e32 vcc, 0, v1
	s_and_saveexec_b64 s[44:45], vcc
	s_cbranch_execz .LBB2_713
; %bb.712:                              ;   in Loop: Header=BB2_643 Depth=2
	s_bcnt1_i32_b64 s46, s[46:47]
	v_mov_b32_e32 v1, s46
	s_waitcnt vmcnt(0)
	global_atomic_add_x2 v[3:4], v[1:2], off offset:8
.LBB2_713:                              ;   in Loop: Header=BB2_643 Depth=2
	s_or_b64 exec, exec, s[44:45]
	s_waitcnt vmcnt(0)
	global_load_dwordx2 v[7:8], v[3:4], off offset:16
	s_waitcnt vmcnt(0)
	v_cmp_eq_u64_e32 vcc, 0, v[7:8]
	s_cbranch_vccnz .LBB2_715
; %bb.714:                              ;   in Loop: Header=BB2_643 Depth=2
	global_load_dword v1, v[3:4], off offset:24
	s_waitcnt vmcnt(0)
	v_readfirstlane_b32 s44, v1
	s_and_b32 m0, s44, 0xffffff
	global_store_dwordx2 v[7:8], v[1:2], off
	s_sendmsg sendmsg(MSG_INTERRUPT)
.LBB2_715:                              ;   in Loop: Header=BB2_643 Depth=2
	s_or_b64 exec, exec, s[42:43]
	v_add_co_u32_e32 v3, vcc, v27, v37
	v_addc_co_u32_e32 v4, vcc, 0, v28, vcc
	s_branch .LBB2_719
.LBB2_716:                              ;   in Loop: Header=BB2_719 Depth=3
	s_or_b64 exec, exec, s[42:43]
	v_readfirstlane_b32 s42, v1
	s_cmp_eq_u32 s42, 0
	s_cbranch_scc1 .LBB2_718
; %bb.717:                              ;   in Loop: Header=BB2_719 Depth=3
	s_sleep 1
	s_cbranch_execnz .LBB2_719
	s_branch .LBB2_721
.LBB2_718:                              ;   in Loop: Header=BB2_643 Depth=2
	s_branch .LBB2_721
.LBB2_719:                              ;   Parent Loop BB2_448 Depth=1
                                        ;     Parent Loop BB2_643 Depth=2
                                        ; =>    This Inner Loop Header: Depth=3
	v_mov_b32_e32 v1, 1
	s_and_saveexec_b64 s[42:43], s[4:5]
	s_cbranch_execz .LBB2_716
; %bb.720:                              ;   in Loop: Header=BB2_719 Depth=3
	global_load_dword v1, v[29:30], off offset:20 glc
	s_waitcnt vmcnt(0)
	buffer_wbinvl1_vol
	v_and_b32_e32 v1, 1, v1
	s_branch .LBB2_716
.LBB2_721:                              ;   in Loop: Header=BB2_643 Depth=2
	global_load_dwordx2 v[7:8], v[3:4], off
	s_and_saveexec_b64 s[42:43], s[4:5]
	s_cbranch_execz .LBB2_642
; %bb.722:                              ;   in Loop: Header=BB2_643 Depth=2
	global_load_dwordx2 v[3:4], v2, s[34:35] offset:40
	global_load_dwordx2 v[17:18], v2, s[34:35] offset:24 glc
	global_load_dwordx2 v[9:10], v2, s[34:35]
	s_waitcnt vmcnt(2)
	v_readfirstlane_b32 s44, v3
	v_readfirstlane_b32 s45, v4
	s_add_u32 s46, s44, 1
	s_addc_u32 s47, s45, 0
	s_add_u32 s4, s46, s40
	s_addc_u32 s5, s47, s41
	s_cmp_eq_u64 s[4:5], 0
	s_cselect_b32 s5, s47, s5
	s_cselect_b32 s4, s46, s4
	s_and_b64 s[40:41], s[4:5], s[44:45]
	s_mul_i32 s41, s41, 24
	s_mul_hi_u32 s44, s40, 24
	s_mul_i32 s40, s40, 24
	s_add_i32 s41, s44, s41
	v_mov_b32_e32 v1, s41
	s_waitcnt vmcnt(0)
	v_add_co_u32_e32 v3, vcc, s40, v9
	v_addc_co_u32_e32 v4, vcc, v10, v1, vcc
	v_mov_b32_e32 v15, s4
	global_store_dwordx2 v[3:4], v[17:18], off
	v_mov_b32_e32 v16, s5
	s_waitcnt vmcnt(0)
	global_atomic_cmpswap_x2 v[15:16], v2, v[15:18], s[34:35] offset:24 glc
	s_waitcnt vmcnt(0)
	v_cmp_ne_u64_e32 vcc, v[15:16], v[17:18]
	s_and_b64 exec, exec, vcc
	s_cbranch_execz .LBB2_642
; %bb.723:                              ;   in Loop: Header=BB2_643 Depth=2
	s_mov_b64 s[40:41], 0
.LBB2_724:                              ;   Parent Loop BB2_448 Depth=1
                                        ;     Parent Loop BB2_643 Depth=2
                                        ; =>    This Inner Loop Header: Depth=3
	s_sleep 1
	global_store_dwordx2 v[3:4], v[15:16], off
	v_mov_b32_e32 v13, s4
	v_mov_b32_e32 v14, s5
	s_waitcnt vmcnt(0)
	global_atomic_cmpswap_x2 v[9:10], v2, v[13:16], s[34:35] offset:24 glc
	s_waitcnt vmcnt(0)
	v_cmp_eq_u64_e32 vcc, v[9:10], v[15:16]
	v_mov_b32_e32 v16, v10
	s_or_b64 s[40:41], vcc, s[40:41]
	v_mov_b32_e32 v15, v9
	s_andn2_b64 exec, exec, s[40:41]
	s_cbranch_execnz .LBB2_724
	s_branch .LBB2_642
.LBB2_725:                              ;   in Loop: Header=BB2_448 Depth=1
	s_branch .LBB2_754
.LBB2_726:                              ;   in Loop: Header=BB2_448 Depth=1
                                        ; implicit-def: $vgpr7_vgpr8
	s_cbranch_execz .LBB2_754
; %bb.727:                              ;   in Loop: Header=BB2_448 Depth=1
	v_readfirstlane_b32 s4, v38
	v_mov_b32_e32 v3, 0
	v_mov_b32_e32 v4, 0
	v_cmp_eq_u32_e64 s[4:5], s4, v38
	s_and_saveexec_b64 s[24:25], s[4:5]
	s_cbranch_execz .LBB2_733
; %bb.728:                              ;   in Loop: Header=BB2_448 Depth=1
	global_load_dwordx2 v[9:10], v2, s[34:35] offset:24 glc
	s_waitcnt vmcnt(0)
	buffer_wbinvl1_vol
	global_load_dwordx2 v[3:4], v2, s[34:35] offset:40
	global_load_dwordx2 v[7:8], v2, s[34:35]
	s_waitcnt vmcnt(1)
	v_and_b32_e32 v1, v3, v9
	v_and_b32_e32 v3, v4, v10
	v_mul_lo_u32 v3, v3, 24
	v_mul_hi_u32 v4, v1, 24
	v_mul_lo_u32 v1, v1, 24
	v_add_u32_e32 v4, v4, v3
	s_waitcnt vmcnt(0)
	v_add_co_u32_e32 v3, vcc, v7, v1
	v_addc_co_u32_e32 v4, vcc, v8, v4, vcc
	global_load_dwordx2 v[7:8], v[3:4], off glc
	s_waitcnt vmcnt(0)
	global_atomic_cmpswap_x2 v[3:4], v2, v[7:10], s[34:35] offset:24 glc
	s_waitcnt vmcnt(0)
	buffer_wbinvl1_vol
	v_cmp_ne_u64_e32 vcc, v[3:4], v[9:10]
	s_and_saveexec_b64 s[36:37], vcc
	s_cbranch_execz .LBB2_732
; %bb.729:                              ;   in Loop: Header=BB2_448 Depth=1
	s_mov_b64 s[38:39], 0
.LBB2_730:                              ;   Parent Loop BB2_448 Depth=1
                                        ; =>  This Inner Loop Header: Depth=2
	s_sleep 1
	global_load_dwordx2 v[7:8], v2, s[34:35] offset:40
	global_load_dwordx2 v[13:14], v2, s[34:35]
	v_mov_b32_e32 v10, v4
	v_mov_b32_e32 v9, v3
	s_waitcnt vmcnt(1)
	v_and_b32_e32 v1, v7, v9
	s_waitcnt vmcnt(0)
	v_mad_u64_u32 v[3:4], s[40:41], v1, 24, v[13:14]
	v_and_b32_e32 v7, v8, v10
	v_mov_b32_e32 v1, v4
	v_mad_u64_u32 v[7:8], s[40:41], v7, 24, v[1:2]
	v_mov_b32_e32 v4, v7
	global_load_dwordx2 v[7:8], v[3:4], off glc
	s_waitcnt vmcnt(0)
	global_atomic_cmpswap_x2 v[3:4], v2, v[7:10], s[34:35] offset:24 glc
	s_waitcnt vmcnt(0)
	buffer_wbinvl1_vol
	v_cmp_eq_u64_e32 vcc, v[3:4], v[9:10]
	s_or_b64 s[38:39], vcc, s[38:39]
	s_andn2_b64 exec, exec, s[38:39]
	s_cbranch_execnz .LBB2_730
; %bb.731:                              ;   in Loop: Header=BB2_448 Depth=1
	s_or_b64 exec, exec, s[38:39]
.LBB2_732:                              ;   in Loop: Header=BB2_448 Depth=1
	s_or_b64 exec, exec, s[36:37]
.LBB2_733:                              ;   in Loop: Header=BB2_448 Depth=1
	s_or_b64 exec, exec, s[24:25]
	global_load_dwordx2 v[13:14], v2, s[34:35] offset:40
	global_load_dwordx4 v[7:10], v2, s[34:35]
	v_readfirstlane_b32 s25, v4
	v_readfirstlane_b32 s24, v3
	s_mov_b64 s[36:37], exec
	s_waitcnt vmcnt(1)
	v_readfirstlane_b32 s38, v13
	v_readfirstlane_b32 s39, v14
	s_and_b64 s[38:39], s[38:39], s[24:25]
	s_mul_i32 s40, s39, 24
	s_mul_hi_u32 s41, s38, 24
	s_mul_i32 s42, s38, 24
	s_add_i32 s40, s41, s40
	v_mov_b32_e32 v1, s40
	s_waitcnt vmcnt(0)
	v_add_co_u32_e32 v15, vcc, s42, v7
	v_addc_co_u32_e32 v16, vcc, v8, v1, vcc
	s_and_saveexec_b64 s[40:41], s[4:5]
	s_cbranch_execz .LBB2_735
; %bb.734:                              ;   in Loop: Header=BB2_448 Depth=1
	v_mov_b32_e32 v3, s36
	v_mov_b32_e32 v4, s37
	global_store_dwordx4 v[15:16], v[3:6], off offset:8
.LBB2_735:                              ;   in Loop: Header=BB2_448 Depth=1
	s_or_b64 exec, exec, s[40:41]
	s_lshl_b64 s[36:37], s[38:39], 12
	v_mov_b32_e32 v1, s37
	v_add_co_u32_e32 v17, vcc, s36, v9
	v_addc_co_u32_e32 v18, vcc, v10, v1, vcc
	v_and_or_b32 v11, v11, s33, 32
	v_mov_b32_e32 v13, v2
	v_mov_b32_e32 v14, v2
	v_readfirstlane_b32 s36, v17
	v_readfirstlane_b32 s37, v18
	s_nop 4
	global_store_dwordx4 v37, v[11:14], s[36:37]
	v_mov_b32_e32 v9, s12
	v_mov_b32_e32 v10, s13
	;; [unrolled: 1-line block ×4, first 2 shown]
	global_store_dwordx4 v37, v[9:12], s[36:37] offset:16
	global_store_dwordx4 v37, v[9:12], s[36:37] offset:32
	;; [unrolled: 1-line block ×3, first 2 shown]
	s_and_saveexec_b64 s[36:37], s[4:5]
	s_cbranch_execz .LBB2_743
; %bb.736:                              ;   in Loop: Header=BB2_448 Depth=1
	global_load_dwordx2 v[11:12], v2, s[34:35] offset:32 glc
	global_load_dwordx2 v[3:4], v2, s[34:35] offset:40
	v_mov_b32_e32 v9, s24
	v_mov_b32_e32 v10, s25
	s_waitcnt vmcnt(0)
	v_readfirstlane_b32 s38, v3
	v_readfirstlane_b32 s39, v4
	s_and_b64 s[38:39], s[38:39], s[24:25]
	s_mul_i32 s39, s39, 24
	s_mul_hi_u32 s40, s38, 24
	s_mul_i32 s38, s38, 24
	s_add_i32 s39, s40, s39
	v_mov_b32_e32 v1, s39
	v_add_co_u32_e32 v3, vcc, s38, v7
	v_addc_co_u32_e32 v4, vcc, v8, v1, vcc
	global_store_dwordx2 v[3:4], v[11:12], off
	s_waitcnt vmcnt(0)
	global_atomic_cmpswap_x2 v[9:10], v2, v[9:12], s[34:35] offset:32 glc
	s_waitcnt vmcnt(0)
	v_cmp_ne_u64_e32 vcc, v[9:10], v[11:12]
	s_and_saveexec_b64 s[38:39], vcc
	s_cbranch_execz .LBB2_739
; %bb.737:                              ;   in Loop: Header=BB2_448 Depth=1
	s_mov_b64 s[40:41], 0
.LBB2_738:                              ;   Parent Loop BB2_448 Depth=1
                                        ; =>  This Inner Loop Header: Depth=2
	s_sleep 1
	global_store_dwordx2 v[3:4], v[9:10], off
	v_mov_b32_e32 v7, s24
	v_mov_b32_e32 v8, s25
	s_waitcnt vmcnt(0)
	global_atomic_cmpswap_x2 v[7:8], v2, v[7:10], s[34:35] offset:32 glc
	s_waitcnt vmcnt(0)
	v_cmp_eq_u64_e32 vcc, v[7:8], v[9:10]
	v_mov_b32_e32 v10, v8
	s_or_b64 s[40:41], vcc, s[40:41]
	v_mov_b32_e32 v9, v7
	s_andn2_b64 exec, exec, s[40:41]
	s_cbranch_execnz .LBB2_738
.LBB2_739:                              ;   in Loop: Header=BB2_448 Depth=1
	s_or_b64 exec, exec, s[38:39]
	global_load_dwordx2 v[3:4], v2, s[34:35] offset:16
	s_mov_b64 s[40:41], exec
	v_mbcnt_lo_u32_b32 v1, s40, 0
	v_mbcnt_hi_u32_b32 v1, s41, v1
	v_cmp_eq_u32_e32 vcc, 0, v1
	s_and_saveexec_b64 s[38:39], vcc
	s_cbranch_execz .LBB2_741
; %bb.740:                              ;   in Loop: Header=BB2_448 Depth=1
	s_bcnt1_i32_b64 s40, s[40:41]
	v_mov_b32_e32 v1, s40
	s_waitcnt vmcnt(0)
	global_atomic_add_x2 v[3:4], v[1:2], off offset:8
.LBB2_741:                              ;   in Loop: Header=BB2_448 Depth=1
	s_or_b64 exec, exec, s[38:39]
	s_waitcnt vmcnt(0)
	global_load_dwordx2 v[7:8], v[3:4], off offset:16
	s_waitcnt vmcnt(0)
	v_cmp_eq_u64_e32 vcc, 0, v[7:8]
	s_cbranch_vccnz .LBB2_743
; %bb.742:                              ;   in Loop: Header=BB2_448 Depth=1
	global_load_dword v1, v[3:4], off offset:24
	s_waitcnt vmcnt(0)
	v_readfirstlane_b32 s38, v1
	s_and_b32 m0, s38, 0xffffff
	global_store_dwordx2 v[7:8], v[1:2], off
	s_sendmsg sendmsg(MSG_INTERRUPT)
.LBB2_743:                              ;   in Loop: Header=BB2_448 Depth=1
	s_or_b64 exec, exec, s[36:37]
	v_add_co_u32_e32 v3, vcc, v17, v37
	v_addc_co_u32_e32 v4, vcc, 0, v18, vcc
	s_branch .LBB2_747
.LBB2_744:                              ;   in Loop: Header=BB2_747 Depth=2
	s_or_b64 exec, exec, s[36:37]
	v_readfirstlane_b32 s36, v1
	s_cmp_eq_u32 s36, 0
	s_cbranch_scc1 .LBB2_746
; %bb.745:                              ;   in Loop: Header=BB2_747 Depth=2
	s_sleep 1
	s_cbranch_execnz .LBB2_747
	s_branch .LBB2_749
.LBB2_746:                              ;   in Loop: Header=BB2_448 Depth=1
	s_branch .LBB2_749
.LBB2_747:                              ;   Parent Loop BB2_448 Depth=1
                                        ; =>  This Inner Loop Header: Depth=2
	v_mov_b32_e32 v1, 1
	s_and_saveexec_b64 s[36:37], s[4:5]
	s_cbranch_execz .LBB2_744
; %bb.748:                              ;   in Loop: Header=BB2_747 Depth=2
	global_load_dword v1, v[15:16], off offset:20 glc
	s_waitcnt vmcnt(0)
	buffer_wbinvl1_vol
	v_and_b32_e32 v1, 1, v1
	s_branch .LBB2_744
.LBB2_749:                              ;   in Loop: Header=BB2_448 Depth=1
	global_load_dwordx2 v[7:8], v[3:4], off
	s_and_saveexec_b64 s[36:37], s[4:5]
	s_cbranch_execz .LBB2_753
; %bb.750:                              ;   in Loop: Header=BB2_448 Depth=1
	global_load_dwordx2 v[3:4], v2, s[34:35] offset:40
	global_load_dwordx2 v[13:14], v2, s[34:35] offset:24 glc
	global_load_dwordx2 v[9:10], v2, s[34:35]
	s_waitcnt vmcnt(2)
	v_readfirstlane_b32 s38, v3
	v_readfirstlane_b32 s39, v4
	s_add_u32 s40, s38, 1
	s_addc_u32 s41, s39, 0
	s_add_u32 s4, s40, s24
	s_addc_u32 s5, s41, s25
	s_cmp_eq_u64 s[4:5], 0
	s_cselect_b32 s5, s41, s5
	s_cselect_b32 s4, s40, s4
	s_and_b64 s[24:25], s[4:5], s[38:39]
	s_mul_i32 s25, s25, 24
	s_mul_hi_u32 s38, s24, 24
	s_mul_i32 s24, s24, 24
	s_add_i32 s25, s38, s25
	v_mov_b32_e32 v1, s25
	s_waitcnt vmcnt(0)
	v_add_co_u32_e32 v3, vcc, s24, v9
	v_addc_co_u32_e32 v4, vcc, v10, v1, vcc
	v_mov_b32_e32 v11, s4
	global_store_dwordx2 v[3:4], v[13:14], off
	v_mov_b32_e32 v12, s5
	s_waitcnt vmcnt(0)
	global_atomic_cmpswap_x2 v[11:12], v2, v[11:14], s[34:35] offset:24 glc
	s_waitcnt vmcnt(0)
	v_cmp_ne_u64_e32 vcc, v[11:12], v[13:14]
	s_and_b64 exec, exec, vcc
	s_cbranch_execz .LBB2_753
; %bb.751:                              ;   in Loop: Header=BB2_448 Depth=1
	s_mov_b64 s[24:25], 0
.LBB2_752:                              ;   Parent Loop BB2_448 Depth=1
                                        ; =>  This Inner Loop Header: Depth=2
	s_sleep 1
	global_store_dwordx2 v[3:4], v[11:12], off
	v_mov_b32_e32 v9, s4
	v_mov_b32_e32 v10, s5
	s_waitcnt vmcnt(0)
	global_atomic_cmpswap_x2 v[9:10], v2, v[9:12], s[34:35] offset:24 glc
	s_waitcnt vmcnt(0)
	v_cmp_eq_u64_e32 vcc, v[9:10], v[11:12]
	v_mov_b32_e32 v12, v10
	s_or_b64 s[24:25], vcc, s[24:25]
	v_mov_b32_e32 v11, v9
	s_andn2_b64 exec, exec, s[24:25]
	s_cbranch_execnz .LBB2_752
.LBB2_753:                              ;   in Loop: Header=BB2_448 Depth=1
	s_or_b64 exec, exec, s[36:37]
.LBB2_754:                              ;   in Loop: Header=BB2_448 Depth=1
	s_and_b32 s36, s29, 1
	s_getpc_b64 s[4:5]
	s_add_u32 s4, s4, .str.4@rel32@lo+4
	s_addc_u32 s5, s5, .str.4@rel32@hi+12
	s_getpc_b64 s[24:25]
	s_add_u32 s24, s24, .str.3@rel32@lo+4
	s_addc_u32 s25, s25, .str.3@rel32@hi+12
	s_cmp_eq_u32 s36, 0
	s_cselect_b32 s25, s5, s25
	s_cselect_b32 s24, s4, s24
	s_cmp_lg_u64 s[24:25], 0
	s_cselect_b64 s[4:5], -1, 0
	s_cmp_eq_u64 s[24:25], 0
	s_mov_b64 s[36:37], 0
	s_cbranch_scc1 .LBB2_758
; %bb.755:                              ;   in Loop: Header=BB2_448 Depth=1
	s_add_u32 s36, s24, -1
	s_addc_u32 s37, s25, -1
.LBB2_756:                              ;   Parent Loop BB2_448 Depth=1
                                        ; =>  This Inner Loop Header: Depth=2
	global_load_ubyte v1, v2, s[36:37] offset:1
	s_add_u32 s38, s36, 1
	s_addc_u32 s39, s37, 0
	s_mov_b64 s[36:37], s[38:39]
	s_waitcnt vmcnt(0)
	v_cmp_ne_u32_e32 vcc, 0, v1
	s_cbranch_vccnz .LBB2_756
; %bb.757:                              ;   in Loop: Header=BB2_448 Depth=1
	s_sub_u32 s36, s38, s24
	s_subb_u32 s37, s39, s25
	s_add_u32 s36, s36, 1
	s_addc_u32 s37, s37, 0
.LBB2_758:                              ;   in Loop: Header=BB2_448 Depth=1
	s_and_b64 vcc, exec, s[4:5]
	s_cbranch_vccz .LBB2_844
; %bb.759:                              ;   in Loop: Header=BB2_448 Depth=1
	s_waitcnt vmcnt(0)
	v_and_b32_e32 v9, -3, v7
	v_mov_b32_e32 v10, v8
	s_branch .LBB2_761
.LBB2_760:                              ;   in Loop: Header=BB2_761 Depth=2
	s_or_b64 exec, exec, s[42:43]
	s_sub_u32 s36, s36, s38
	s_subb_u32 s37, s37, s39
	s_add_u32 s24, s24, s38
	s_addc_u32 s25, s25, s39
	s_cmp_lg_u64 s[36:37], 0
	s_cbranch_scc0 .LBB2_843
.LBB2_761:                              ;   Parent Loop BB2_448 Depth=1
                                        ; =>  This Loop Header: Depth=2
                                        ;       Child Loop BB2_764 Depth 3
                                        ;       Child Loop BB2_772 Depth 3
	;; [unrolled: 1-line block ×11, first 2 shown]
	v_cmp_lt_u64_e64 s[4:5], s[36:37], 56
	v_cmp_gt_u64_e64 s[40:41], s[36:37], 7
	s_and_b64 s[4:5], s[4:5], exec
	s_cselect_b32 s39, s37, 0
	s_cselect_b32 s38, s36, 56
	s_add_u32 s4, s24, 8
	s_addc_u32 s5, s25, 0
	s_and_b64 vcc, exec, s[40:41]
	s_cbranch_vccnz .LBB2_765
; %bb.762:                              ;   in Loop: Header=BB2_761 Depth=2
	s_cmp_eq_u64 s[36:37], 0
	s_cbranch_scc1 .LBB2_766
; %bb.763:                              ;   in Loop: Header=BB2_761 Depth=2
	v_mov_b32_e32 v11, 0
	s_lshl_b64 s[4:5], s[38:39], 3
	s_mov_b64 s[40:41], 0
	v_mov_b32_e32 v12, 0
	s_mov_b64 s[42:43], s[24:25]
.LBB2_764:                              ;   Parent Loop BB2_448 Depth=1
                                        ;     Parent Loop BB2_761 Depth=2
                                        ; =>    This Inner Loop Header: Depth=3
	global_load_ubyte v1, v2, s[42:43]
	s_waitcnt vmcnt(0)
	v_and_b32_e32 v1, 0xffff, v1
	v_lshlrev_b64 v[3:4], s40, v[1:2]
	s_add_u32 s40, s40, 8
	s_addc_u32 s41, s41, 0
	s_add_u32 s42, s42, 1
	s_addc_u32 s43, s43, 0
	v_or_b32_e32 v11, v3, v11
	s_cmp_lg_u32 s4, s40
	v_or_b32_e32 v12, v4, v12
	s_cbranch_scc1 .LBB2_764
	s_branch .LBB2_767
.LBB2_765:                              ;   in Loop: Header=BB2_761 Depth=2
	s_mov_b32 s44, 0
	s_branch .LBB2_768
.LBB2_766:                              ;   in Loop: Header=BB2_761 Depth=2
	v_mov_b32_e32 v11, 0
	v_mov_b32_e32 v12, 0
.LBB2_767:                              ;   in Loop: Header=BB2_761 Depth=2
	s_mov_b64 s[4:5], s[24:25]
	s_mov_b32 s44, 0
	s_cbranch_execnz .LBB2_769
.LBB2_768:                              ;   in Loop: Header=BB2_761 Depth=2
	global_load_dwordx2 v[11:12], v2, s[24:25]
	s_add_i32 s44, s38, -8
.LBB2_769:                              ;   in Loop: Header=BB2_761 Depth=2
	s_add_u32 s40, s4, 8
	s_addc_u32 s41, s5, 0
	s_cmp_gt_u32 s44, 7
	s_cbranch_scc1 .LBB2_773
; %bb.770:                              ;   in Loop: Header=BB2_761 Depth=2
	s_cmp_eq_u32 s44, 0
	s_cbranch_scc1 .LBB2_774
; %bb.771:                              ;   in Loop: Header=BB2_761 Depth=2
	v_mov_b32_e32 v13, 0
	s_mov_b64 s[40:41], 0
	v_mov_b32_e32 v14, 0
	s_mov_b64 s[42:43], 0
.LBB2_772:                              ;   Parent Loop BB2_448 Depth=1
                                        ;     Parent Loop BB2_761 Depth=2
                                        ; =>    This Inner Loop Header: Depth=3
	s_add_u32 s46, s4, s42
	s_addc_u32 s47, s5, s43
	global_load_ubyte v1, v2, s[46:47]
	s_add_u32 s42, s42, 1
	s_addc_u32 s43, s43, 0
	s_waitcnt vmcnt(0)
	v_and_b32_e32 v1, 0xffff, v1
	v_lshlrev_b64 v[3:4], s40, v[1:2]
	s_add_u32 s40, s40, 8
	s_addc_u32 s41, s41, 0
	v_or_b32_e32 v13, v3, v13
	s_cmp_lg_u32 s44, s42
	v_or_b32_e32 v14, v4, v14
	s_cbranch_scc1 .LBB2_772
	s_branch .LBB2_775
.LBB2_773:                              ;   in Loop: Header=BB2_761 Depth=2
                                        ; implicit-def: $vgpr13_vgpr14
	s_mov_b32 s45, 0
	s_branch .LBB2_776
.LBB2_774:                              ;   in Loop: Header=BB2_761 Depth=2
	v_mov_b32_e32 v13, 0
	v_mov_b32_e32 v14, 0
.LBB2_775:                              ;   in Loop: Header=BB2_761 Depth=2
	s_mov_b64 s[40:41], s[4:5]
	s_mov_b32 s45, 0
	s_cbranch_execnz .LBB2_777
.LBB2_776:                              ;   in Loop: Header=BB2_761 Depth=2
	global_load_dwordx2 v[13:14], v2, s[4:5]
	s_add_i32 s45, s44, -8
.LBB2_777:                              ;   in Loop: Header=BB2_761 Depth=2
	s_add_u32 s4, s40, 8
	s_addc_u32 s5, s41, 0
	s_cmp_gt_u32 s45, 7
	s_cbranch_scc1 .LBB2_781
; %bb.778:                              ;   in Loop: Header=BB2_761 Depth=2
	s_cmp_eq_u32 s45, 0
	s_cbranch_scc1 .LBB2_782
; %bb.779:                              ;   in Loop: Header=BB2_761 Depth=2
	v_mov_b32_e32 v15, 0
	s_mov_b64 s[4:5], 0
	v_mov_b32_e32 v16, 0
	s_mov_b64 s[42:43], 0
.LBB2_780:                              ;   Parent Loop BB2_448 Depth=1
                                        ;     Parent Loop BB2_761 Depth=2
                                        ; =>    This Inner Loop Header: Depth=3
	s_add_u32 s46, s40, s42
	s_addc_u32 s47, s41, s43
	global_load_ubyte v1, v2, s[46:47]
	s_add_u32 s42, s42, 1
	s_addc_u32 s43, s43, 0
	s_waitcnt vmcnt(0)
	v_and_b32_e32 v1, 0xffff, v1
	v_lshlrev_b64 v[3:4], s4, v[1:2]
	s_add_u32 s4, s4, 8
	s_addc_u32 s5, s5, 0
	v_or_b32_e32 v15, v3, v15
	s_cmp_lg_u32 s45, s42
	v_or_b32_e32 v16, v4, v16
	s_cbranch_scc1 .LBB2_780
	s_branch .LBB2_783
.LBB2_781:                              ;   in Loop: Header=BB2_761 Depth=2
	s_mov_b32 s44, 0
	s_branch .LBB2_784
.LBB2_782:                              ;   in Loop: Header=BB2_761 Depth=2
	v_mov_b32_e32 v15, 0
	v_mov_b32_e32 v16, 0
.LBB2_783:                              ;   in Loop: Header=BB2_761 Depth=2
	s_mov_b64 s[4:5], s[40:41]
	s_mov_b32 s44, 0
	s_cbranch_execnz .LBB2_785
.LBB2_784:                              ;   in Loop: Header=BB2_761 Depth=2
	global_load_dwordx2 v[15:16], v2, s[40:41]
	s_add_i32 s44, s45, -8
.LBB2_785:                              ;   in Loop: Header=BB2_761 Depth=2
	s_add_u32 s40, s4, 8
	s_addc_u32 s41, s5, 0
	s_cmp_gt_u32 s44, 7
	s_cbranch_scc1 .LBB2_789
; %bb.786:                              ;   in Loop: Header=BB2_761 Depth=2
	s_cmp_eq_u32 s44, 0
	s_cbranch_scc1 .LBB2_790
; %bb.787:                              ;   in Loop: Header=BB2_761 Depth=2
	v_mov_b32_e32 v17, 0
	s_mov_b64 s[40:41], 0
	v_mov_b32_e32 v18, 0
	s_mov_b64 s[42:43], 0
.LBB2_788:                              ;   Parent Loop BB2_448 Depth=1
                                        ;     Parent Loop BB2_761 Depth=2
                                        ; =>    This Inner Loop Header: Depth=3
	s_add_u32 s46, s4, s42
	s_addc_u32 s47, s5, s43
	global_load_ubyte v1, v2, s[46:47]
	s_add_u32 s42, s42, 1
	s_addc_u32 s43, s43, 0
	s_waitcnt vmcnt(0)
	v_and_b32_e32 v1, 0xffff, v1
	v_lshlrev_b64 v[3:4], s40, v[1:2]
	s_add_u32 s40, s40, 8
	s_addc_u32 s41, s41, 0
	v_or_b32_e32 v17, v3, v17
	s_cmp_lg_u32 s44, s42
	v_or_b32_e32 v18, v4, v18
	s_cbranch_scc1 .LBB2_788
	s_branch .LBB2_791
.LBB2_789:                              ;   in Loop: Header=BB2_761 Depth=2
                                        ; implicit-def: $vgpr17_vgpr18
	s_mov_b32 s45, 0
	s_branch .LBB2_792
.LBB2_790:                              ;   in Loop: Header=BB2_761 Depth=2
	v_mov_b32_e32 v17, 0
	v_mov_b32_e32 v18, 0
.LBB2_791:                              ;   in Loop: Header=BB2_761 Depth=2
	s_mov_b64 s[40:41], s[4:5]
	s_mov_b32 s45, 0
	s_cbranch_execnz .LBB2_793
.LBB2_792:                              ;   in Loop: Header=BB2_761 Depth=2
	global_load_dwordx2 v[17:18], v2, s[4:5]
	s_add_i32 s45, s44, -8
.LBB2_793:                              ;   in Loop: Header=BB2_761 Depth=2
	s_add_u32 s4, s40, 8
	s_addc_u32 s5, s41, 0
	s_cmp_gt_u32 s45, 7
	s_cbranch_scc1 .LBB2_797
; %bb.794:                              ;   in Loop: Header=BB2_761 Depth=2
	s_cmp_eq_u32 s45, 0
	s_cbranch_scc1 .LBB2_798
; %bb.795:                              ;   in Loop: Header=BB2_761 Depth=2
	v_mov_b32_e32 v19, 0
	s_mov_b64 s[4:5], 0
	v_mov_b32_e32 v20, 0
	s_mov_b64 s[42:43], 0
.LBB2_796:                              ;   Parent Loop BB2_448 Depth=1
                                        ;     Parent Loop BB2_761 Depth=2
                                        ; =>    This Inner Loop Header: Depth=3
	s_add_u32 s46, s40, s42
	s_addc_u32 s47, s41, s43
	global_load_ubyte v1, v2, s[46:47]
	s_add_u32 s42, s42, 1
	s_addc_u32 s43, s43, 0
	s_waitcnt vmcnt(0)
	v_and_b32_e32 v1, 0xffff, v1
	v_lshlrev_b64 v[3:4], s4, v[1:2]
	s_add_u32 s4, s4, 8
	s_addc_u32 s5, s5, 0
	v_or_b32_e32 v19, v3, v19
	s_cmp_lg_u32 s45, s42
	v_or_b32_e32 v20, v4, v20
	s_cbranch_scc1 .LBB2_796
	s_branch .LBB2_799
.LBB2_797:                              ;   in Loop: Header=BB2_761 Depth=2
	s_mov_b32 s44, 0
	s_branch .LBB2_800
.LBB2_798:                              ;   in Loop: Header=BB2_761 Depth=2
	v_mov_b32_e32 v19, 0
	v_mov_b32_e32 v20, 0
.LBB2_799:                              ;   in Loop: Header=BB2_761 Depth=2
	s_mov_b64 s[4:5], s[40:41]
	s_mov_b32 s44, 0
	s_cbranch_execnz .LBB2_801
.LBB2_800:                              ;   in Loop: Header=BB2_761 Depth=2
	global_load_dwordx2 v[19:20], v2, s[40:41]
	s_add_i32 s44, s45, -8
.LBB2_801:                              ;   in Loop: Header=BB2_761 Depth=2
	s_add_u32 s40, s4, 8
	s_addc_u32 s41, s5, 0
	s_cmp_gt_u32 s44, 7
	s_cbranch_scc1 .LBB2_805
; %bb.802:                              ;   in Loop: Header=BB2_761 Depth=2
	s_cmp_eq_u32 s44, 0
	s_cbranch_scc1 .LBB2_806
; %bb.803:                              ;   in Loop: Header=BB2_761 Depth=2
	v_mov_b32_e32 v21, 0
	s_mov_b64 s[40:41], 0
	v_mov_b32_e32 v22, 0
	s_mov_b64 s[42:43], 0
.LBB2_804:                              ;   Parent Loop BB2_448 Depth=1
                                        ;     Parent Loop BB2_761 Depth=2
                                        ; =>    This Inner Loop Header: Depth=3
	s_add_u32 s46, s4, s42
	s_addc_u32 s47, s5, s43
	global_load_ubyte v1, v2, s[46:47]
	s_add_u32 s42, s42, 1
	s_addc_u32 s43, s43, 0
	s_waitcnt vmcnt(0)
	v_and_b32_e32 v1, 0xffff, v1
	v_lshlrev_b64 v[3:4], s40, v[1:2]
	s_add_u32 s40, s40, 8
	s_addc_u32 s41, s41, 0
	v_or_b32_e32 v21, v3, v21
	s_cmp_lg_u32 s44, s42
	v_or_b32_e32 v22, v4, v22
	s_cbranch_scc1 .LBB2_804
	s_branch .LBB2_807
.LBB2_805:                              ;   in Loop: Header=BB2_761 Depth=2
                                        ; implicit-def: $vgpr21_vgpr22
	s_mov_b32 s45, 0
	s_branch .LBB2_808
.LBB2_806:                              ;   in Loop: Header=BB2_761 Depth=2
	v_mov_b32_e32 v21, 0
	v_mov_b32_e32 v22, 0
.LBB2_807:                              ;   in Loop: Header=BB2_761 Depth=2
	s_mov_b64 s[40:41], s[4:5]
	s_mov_b32 s45, 0
	s_cbranch_execnz .LBB2_809
.LBB2_808:                              ;   in Loop: Header=BB2_761 Depth=2
	global_load_dwordx2 v[21:22], v2, s[4:5]
	s_add_i32 s45, s44, -8
.LBB2_809:                              ;   in Loop: Header=BB2_761 Depth=2
	s_cmp_gt_u32 s45, 7
	s_cbranch_scc1 .LBB2_813
; %bb.810:                              ;   in Loop: Header=BB2_761 Depth=2
	s_cmp_eq_u32 s45, 0
	s_cbranch_scc1 .LBB2_814
; %bb.811:                              ;   in Loop: Header=BB2_761 Depth=2
	v_mov_b32_e32 v23, 0
	s_mov_b64 s[4:5], 0
	v_mov_b32_e32 v24, 0
	s_mov_b64 s[42:43], s[40:41]
.LBB2_812:                              ;   Parent Loop BB2_448 Depth=1
                                        ;     Parent Loop BB2_761 Depth=2
                                        ; =>    This Inner Loop Header: Depth=3
	global_load_ubyte v1, v2, s[42:43]
	s_add_i32 s45, s45, -1
	s_waitcnt vmcnt(0)
	v_and_b32_e32 v1, 0xffff, v1
	v_lshlrev_b64 v[3:4], s4, v[1:2]
	s_add_u32 s4, s4, 8
	s_addc_u32 s5, s5, 0
	s_add_u32 s42, s42, 1
	s_addc_u32 s43, s43, 0
	v_or_b32_e32 v23, v3, v23
	s_cmp_lg_u32 s45, 0
	v_or_b32_e32 v24, v4, v24
	s_cbranch_scc1 .LBB2_812
	s_branch .LBB2_815
.LBB2_813:                              ;   in Loop: Header=BB2_761 Depth=2
	s_branch .LBB2_816
.LBB2_814:                              ;   in Loop: Header=BB2_761 Depth=2
	v_mov_b32_e32 v23, 0
	v_mov_b32_e32 v24, 0
.LBB2_815:                              ;   in Loop: Header=BB2_761 Depth=2
	s_cbranch_execnz .LBB2_817
.LBB2_816:                              ;   in Loop: Header=BB2_761 Depth=2
	global_load_dwordx2 v[23:24], v2, s[40:41]
.LBB2_817:                              ;   in Loop: Header=BB2_761 Depth=2
	v_readfirstlane_b32 s4, v38
	v_mov_b32_e32 v3, 0
	v_mov_b32_e32 v4, 0
	v_cmp_eq_u32_e64 s[4:5], s4, v38
	s_and_saveexec_b64 s[40:41], s[4:5]
	s_cbranch_execz .LBB2_823
; %bb.818:                              ;   in Loop: Header=BB2_761 Depth=2
	global_load_dwordx2 v[27:28], v2, s[34:35] offset:24 glc
	s_waitcnt vmcnt(0)
	buffer_wbinvl1_vol
	global_load_dwordx2 v[3:4], v2, s[34:35] offset:40
	global_load_dwordx2 v[25:26], v2, s[34:35]
	s_waitcnt vmcnt(1)
	v_and_b32_e32 v1, v3, v27
	v_and_b32_e32 v3, v4, v28
	v_mul_lo_u32 v3, v3, 24
	v_mul_hi_u32 v4, v1, 24
	v_mul_lo_u32 v1, v1, 24
	v_add_u32_e32 v4, v4, v3
	s_waitcnt vmcnt(0)
	v_add_co_u32_e32 v3, vcc, v25, v1
	v_addc_co_u32_e32 v4, vcc, v26, v4, vcc
	global_load_dwordx2 v[25:26], v[3:4], off glc
	s_waitcnt vmcnt(0)
	global_atomic_cmpswap_x2 v[3:4], v2, v[25:28], s[34:35] offset:24 glc
	s_waitcnt vmcnt(0)
	buffer_wbinvl1_vol
	v_cmp_ne_u64_e32 vcc, v[3:4], v[27:28]
	s_and_saveexec_b64 s[42:43], vcc
	s_cbranch_execz .LBB2_822
; %bb.819:                              ;   in Loop: Header=BB2_761 Depth=2
	s_mov_b64 s[44:45], 0
.LBB2_820:                              ;   Parent Loop BB2_448 Depth=1
                                        ;     Parent Loop BB2_761 Depth=2
                                        ; =>    This Inner Loop Header: Depth=3
	s_sleep 1
	global_load_dwordx2 v[25:26], v2, s[34:35] offset:40
	global_load_dwordx2 v[29:30], v2, s[34:35]
	v_mov_b32_e32 v28, v4
	v_mov_b32_e32 v27, v3
	s_waitcnt vmcnt(1)
	v_and_b32_e32 v1, v25, v27
	s_waitcnt vmcnt(0)
	v_mad_u64_u32 v[3:4], s[46:47], v1, 24, v[29:30]
	v_and_b32_e32 v25, v26, v28
	v_mov_b32_e32 v1, v4
	v_mad_u64_u32 v[25:26], s[46:47], v25, 24, v[1:2]
	v_mov_b32_e32 v4, v25
	global_load_dwordx2 v[25:26], v[3:4], off glc
	s_waitcnt vmcnt(0)
	global_atomic_cmpswap_x2 v[3:4], v2, v[25:28], s[34:35] offset:24 glc
	s_waitcnt vmcnt(0)
	buffer_wbinvl1_vol
	v_cmp_eq_u64_e32 vcc, v[3:4], v[27:28]
	s_or_b64 s[44:45], vcc, s[44:45]
	s_andn2_b64 exec, exec, s[44:45]
	s_cbranch_execnz .LBB2_820
; %bb.821:                              ;   in Loop: Header=BB2_761 Depth=2
	s_or_b64 exec, exec, s[44:45]
.LBB2_822:                              ;   in Loop: Header=BB2_761 Depth=2
	s_or_b64 exec, exec, s[42:43]
.LBB2_823:                              ;   in Loop: Header=BB2_761 Depth=2
	s_or_b64 exec, exec, s[40:41]
	global_load_dwordx2 v[29:30], v2, s[34:35] offset:40
	global_load_dwordx4 v[25:28], v2, s[34:35]
	v_readfirstlane_b32 s41, v4
	v_readfirstlane_b32 s40, v3
	s_mov_b64 s[42:43], exec
	s_waitcnt vmcnt(1)
	v_readfirstlane_b32 s44, v29
	v_readfirstlane_b32 s45, v30
	s_and_b64 s[44:45], s[44:45], s[40:41]
	s_mul_i32 s46, s45, 24
	s_mul_hi_u32 s47, s44, 24
	s_mul_i32 s49, s44, 24
	s_add_i32 s46, s47, s46
	v_mov_b32_e32 v1, s46
	s_waitcnt vmcnt(0)
	v_add_co_u32_e32 v29, vcc, s49, v25
	v_addc_co_u32_e32 v30, vcc, v26, v1, vcc
	s_and_saveexec_b64 s[46:47], s[4:5]
	s_cbranch_execz .LBB2_825
; %bb.824:                              ;   in Loop: Header=BB2_761 Depth=2
	v_mov_b32_e32 v3, s42
	v_mov_b32_e32 v4, s43
	global_store_dwordx4 v[29:30], v[3:6], off offset:8
.LBB2_825:                              ;   in Loop: Header=BB2_761 Depth=2
	s_or_b64 exec, exec, s[46:47]
	s_lshl_b64 s[42:43], s[44:45], 12
	v_mov_b32_e32 v1, s43
	v_add_co_u32_e32 v27, vcc, s42, v27
	v_addc_co_u32_e32 v28, vcc, v28, v1, vcc
	v_cmp_lt_u64_e64 vcc, s[36:37], 57
	v_and_b32_e32 v1, 2, v7
	s_lshl_b32 s42, s38, 2
	v_cndmask_b32_e32 v1, 0, v1, vcc
	s_add_i32 s42, s42, 28
	v_and_b32_e32 v3, 0xffffff1f, v9
	s_and_b32 s42, s42, 0x1e0
	v_or_b32_e32 v1, v3, v1
	v_or_b32_e32 v9, s42, v1
	v_readfirstlane_b32 s42, v27
	v_readfirstlane_b32 s43, v28
	s_nop 4
	global_store_dwordx4 v37, v[9:12], s[42:43]
	global_store_dwordx4 v37, v[13:16], s[42:43] offset:16
	global_store_dwordx4 v37, v[17:20], s[42:43] offset:32
	;; [unrolled: 1-line block ×3, first 2 shown]
	s_and_saveexec_b64 s[42:43], s[4:5]
	s_cbranch_execz .LBB2_833
; %bb.826:                              ;   in Loop: Header=BB2_761 Depth=2
	global_load_dwordx2 v[13:14], v2, s[34:35] offset:32 glc
	global_load_dwordx2 v[3:4], v2, s[34:35] offset:40
	v_mov_b32_e32 v11, s40
	v_mov_b32_e32 v12, s41
	s_waitcnt vmcnt(0)
	v_readfirstlane_b32 s44, v3
	v_readfirstlane_b32 s45, v4
	s_and_b64 s[44:45], s[44:45], s[40:41]
	s_mul_i32 s45, s45, 24
	s_mul_hi_u32 s46, s44, 24
	s_mul_i32 s44, s44, 24
	s_add_i32 s45, s46, s45
	v_mov_b32_e32 v1, s45
	v_add_co_u32_e32 v3, vcc, s44, v25
	v_addc_co_u32_e32 v4, vcc, v26, v1, vcc
	global_store_dwordx2 v[3:4], v[13:14], off
	s_waitcnt vmcnt(0)
	global_atomic_cmpswap_x2 v[11:12], v2, v[11:14], s[34:35] offset:32 glc
	s_waitcnt vmcnt(0)
	v_cmp_ne_u64_e32 vcc, v[11:12], v[13:14]
	s_and_saveexec_b64 s[44:45], vcc
	s_cbranch_execz .LBB2_829
; %bb.827:                              ;   in Loop: Header=BB2_761 Depth=2
	s_mov_b64 s[46:47], 0
.LBB2_828:                              ;   Parent Loop BB2_448 Depth=1
                                        ;     Parent Loop BB2_761 Depth=2
                                        ; =>    This Inner Loop Header: Depth=3
	s_sleep 1
	global_store_dwordx2 v[3:4], v[11:12], off
	v_mov_b32_e32 v9, s40
	v_mov_b32_e32 v10, s41
	s_waitcnt vmcnt(0)
	global_atomic_cmpswap_x2 v[9:10], v2, v[9:12], s[34:35] offset:32 glc
	s_waitcnt vmcnt(0)
	v_cmp_eq_u64_e32 vcc, v[9:10], v[11:12]
	v_mov_b32_e32 v12, v10
	s_or_b64 s[46:47], vcc, s[46:47]
	v_mov_b32_e32 v11, v9
	s_andn2_b64 exec, exec, s[46:47]
	s_cbranch_execnz .LBB2_828
.LBB2_829:                              ;   in Loop: Header=BB2_761 Depth=2
	s_or_b64 exec, exec, s[44:45]
	global_load_dwordx2 v[3:4], v2, s[34:35] offset:16
	s_mov_b64 s[46:47], exec
	v_mbcnt_lo_u32_b32 v1, s46, 0
	v_mbcnt_hi_u32_b32 v1, s47, v1
	v_cmp_eq_u32_e32 vcc, 0, v1
	s_and_saveexec_b64 s[44:45], vcc
	s_cbranch_execz .LBB2_831
; %bb.830:                              ;   in Loop: Header=BB2_761 Depth=2
	s_bcnt1_i32_b64 s46, s[46:47]
	v_mov_b32_e32 v1, s46
	s_waitcnt vmcnt(0)
	global_atomic_add_x2 v[3:4], v[1:2], off offset:8
.LBB2_831:                              ;   in Loop: Header=BB2_761 Depth=2
	s_or_b64 exec, exec, s[44:45]
	s_waitcnt vmcnt(0)
	global_load_dwordx2 v[9:10], v[3:4], off offset:16
	s_waitcnt vmcnt(0)
	v_cmp_eq_u64_e32 vcc, 0, v[9:10]
	s_cbranch_vccnz .LBB2_833
; %bb.832:                              ;   in Loop: Header=BB2_761 Depth=2
	global_load_dword v1, v[3:4], off offset:24
	s_waitcnt vmcnt(0)
	v_readfirstlane_b32 s44, v1
	s_and_b32 m0, s44, 0xffffff
	global_store_dwordx2 v[9:10], v[1:2], off
	s_sendmsg sendmsg(MSG_INTERRUPT)
.LBB2_833:                              ;   in Loop: Header=BB2_761 Depth=2
	s_or_b64 exec, exec, s[42:43]
	v_add_co_u32_e32 v3, vcc, v27, v37
	v_addc_co_u32_e32 v4, vcc, 0, v28, vcc
	s_branch .LBB2_837
.LBB2_834:                              ;   in Loop: Header=BB2_837 Depth=3
	s_or_b64 exec, exec, s[42:43]
	v_readfirstlane_b32 s42, v1
	s_cmp_eq_u32 s42, 0
	s_cbranch_scc1 .LBB2_836
; %bb.835:                              ;   in Loop: Header=BB2_837 Depth=3
	s_sleep 1
	s_cbranch_execnz .LBB2_837
	s_branch .LBB2_839
.LBB2_836:                              ;   in Loop: Header=BB2_761 Depth=2
	s_branch .LBB2_839
.LBB2_837:                              ;   Parent Loop BB2_448 Depth=1
                                        ;     Parent Loop BB2_761 Depth=2
                                        ; =>    This Inner Loop Header: Depth=3
	v_mov_b32_e32 v1, 1
	s_and_saveexec_b64 s[42:43], s[4:5]
	s_cbranch_execz .LBB2_834
; %bb.838:                              ;   in Loop: Header=BB2_837 Depth=3
	global_load_dword v1, v[29:30], off offset:20 glc
	s_waitcnt vmcnt(0)
	buffer_wbinvl1_vol
	v_and_b32_e32 v1, 1, v1
	s_branch .LBB2_834
.LBB2_839:                              ;   in Loop: Header=BB2_761 Depth=2
	global_load_dwordx2 v[9:10], v[3:4], off
	s_and_saveexec_b64 s[42:43], s[4:5]
	s_cbranch_execz .LBB2_760
; %bb.840:                              ;   in Loop: Header=BB2_761 Depth=2
	global_load_dwordx2 v[3:4], v2, s[34:35] offset:40
	global_load_dwordx2 v[15:16], v2, s[34:35] offset:24 glc
	global_load_dwordx2 v[11:12], v2, s[34:35]
	s_waitcnt vmcnt(2)
	v_readfirstlane_b32 s44, v3
	v_readfirstlane_b32 s45, v4
	s_add_u32 s46, s44, 1
	s_addc_u32 s47, s45, 0
	s_add_u32 s4, s46, s40
	s_addc_u32 s5, s47, s41
	s_cmp_eq_u64 s[4:5], 0
	s_cselect_b32 s5, s47, s5
	s_cselect_b32 s4, s46, s4
	s_and_b64 s[40:41], s[4:5], s[44:45]
	s_mul_i32 s41, s41, 24
	s_mul_hi_u32 s44, s40, 24
	s_mul_i32 s40, s40, 24
	s_add_i32 s41, s44, s41
	v_mov_b32_e32 v1, s41
	s_waitcnt vmcnt(0)
	v_add_co_u32_e32 v3, vcc, s40, v11
	v_addc_co_u32_e32 v4, vcc, v12, v1, vcc
	v_mov_b32_e32 v13, s4
	global_store_dwordx2 v[3:4], v[15:16], off
	v_mov_b32_e32 v14, s5
	s_waitcnt vmcnt(0)
	global_atomic_cmpswap_x2 v[13:14], v2, v[13:16], s[34:35] offset:24 glc
	s_waitcnt vmcnt(0)
	v_cmp_ne_u64_e32 vcc, v[13:14], v[15:16]
	s_and_b64 exec, exec, vcc
	s_cbranch_execz .LBB2_760
; %bb.841:                              ;   in Loop: Header=BB2_761 Depth=2
	s_mov_b64 s[40:41], 0
.LBB2_842:                              ;   Parent Loop BB2_448 Depth=1
                                        ;     Parent Loop BB2_761 Depth=2
                                        ; =>    This Inner Loop Header: Depth=3
	s_sleep 1
	global_store_dwordx2 v[3:4], v[13:14], off
	v_mov_b32_e32 v11, s4
	v_mov_b32_e32 v12, s5
	s_waitcnt vmcnt(0)
	global_atomic_cmpswap_x2 v[11:12], v2, v[11:14], s[34:35] offset:24 glc
	s_waitcnt vmcnt(0)
	v_cmp_eq_u64_e32 vcc, v[11:12], v[13:14]
	v_mov_b32_e32 v14, v12
	s_or_b64 s[40:41], vcc, s[40:41]
	v_mov_b32_e32 v13, v11
	s_andn2_b64 exec, exec, s[40:41]
	s_cbranch_execnz .LBB2_842
	s_branch .LBB2_760
.LBB2_843:                              ;   in Loop: Header=BB2_448 Depth=1
	s_branch .LBB2_872
.LBB2_844:                              ;   in Loop: Header=BB2_448 Depth=1
                                        ; implicit-def: $vgpr9_vgpr10
	s_cbranch_execz .LBB2_872
; %bb.845:                              ;   in Loop: Header=BB2_448 Depth=1
	v_readfirstlane_b32 s4, v38
	v_mov_b32_e32 v3, 0
	v_mov_b32_e32 v4, 0
	v_cmp_eq_u32_e64 s[4:5], s4, v38
	s_and_saveexec_b64 s[24:25], s[4:5]
	s_cbranch_execz .LBB2_851
; %bb.846:                              ;   in Loop: Header=BB2_448 Depth=1
	global_load_dwordx2 v[11:12], v2, s[34:35] offset:24 glc
	s_waitcnt vmcnt(0)
	buffer_wbinvl1_vol
	global_load_dwordx2 v[3:4], v2, s[34:35] offset:40
	global_load_dwordx2 v[9:10], v2, s[34:35]
	s_waitcnt vmcnt(1)
	v_and_b32_e32 v1, v3, v11
	v_and_b32_e32 v3, v4, v12
	v_mul_lo_u32 v3, v3, 24
	v_mul_hi_u32 v4, v1, 24
	v_mul_lo_u32 v1, v1, 24
	v_add_u32_e32 v4, v4, v3
	s_waitcnt vmcnt(0)
	v_add_co_u32_e32 v3, vcc, v9, v1
	v_addc_co_u32_e32 v4, vcc, v10, v4, vcc
	global_load_dwordx2 v[9:10], v[3:4], off glc
	s_waitcnt vmcnt(0)
	global_atomic_cmpswap_x2 v[3:4], v2, v[9:12], s[34:35] offset:24 glc
	s_waitcnt vmcnt(0)
	buffer_wbinvl1_vol
	v_cmp_ne_u64_e32 vcc, v[3:4], v[11:12]
	s_and_saveexec_b64 s[36:37], vcc
	s_cbranch_execz .LBB2_850
; %bb.847:                              ;   in Loop: Header=BB2_448 Depth=1
	s_mov_b64 s[38:39], 0
.LBB2_848:                              ;   Parent Loop BB2_448 Depth=1
                                        ; =>  This Inner Loop Header: Depth=2
	s_sleep 1
	global_load_dwordx2 v[9:10], v2, s[34:35] offset:40
	global_load_dwordx2 v[13:14], v2, s[34:35]
	v_mov_b32_e32 v12, v4
	v_mov_b32_e32 v11, v3
	s_waitcnt vmcnt(1)
	v_and_b32_e32 v1, v9, v11
	s_waitcnt vmcnt(0)
	v_mad_u64_u32 v[3:4], s[40:41], v1, 24, v[13:14]
	v_and_b32_e32 v9, v10, v12
	v_mov_b32_e32 v1, v4
	v_mad_u64_u32 v[9:10], s[40:41], v9, 24, v[1:2]
	v_mov_b32_e32 v4, v9
	global_load_dwordx2 v[9:10], v[3:4], off glc
	s_waitcnt vmcnt(0)
	global_atomic_cmpswap_x2 v[3:4], v2, v[9:12], s[34:35] offset:24 glc
	s_waitcnt vmcnt(0)
	buffer_wbinvl1_vol
	v_cmp_eq_u64_e32 vcc, v[3:4], v[11:12]
	s_or_b64 s[38:39], vcc, s[38:39]
	s_andn2_b64 exec, exec, s[38:39]
	s_cbranch_execnz .LBB2_848
; %bb.849:                              ;   in Loop: Header=BB2_448 Depth=1
	s_or_b64 exec, exec, s[38:39]
.LBB2_850:                              ;   in Loop: Header=BB2_448 Depth=1
	s_or_b64 exec, exec, s[36:37]
.LBB2_851:                              ;   in Loop: Header=BB2_448 Depth=1
	s_or_b64 exec, exec, s[24:25]
	global_load_dwordx2 v[9:10], v2, s[34:35] offset:40
	global_load_dwordx4 v[11:14], v2, s[34:35]
	v_readfirstlane_b32 s25, v4
	v_readfirstlane_b32 s24, v3
	s_mov_b64 s[36:37], exec
	s_waitcnt vmcnt(1)
	v_readfirstlane_b32 s38, v9
	v_readfirstlane_b32 s39, v10
	s_and_b64 s[38:39], s[38:39], s[24:25]
	s_mul_i32 s40, s39, 24
	s_mul_hi_u32 s41, s38, 24
	s_mul_i32 s42, s38, 24
	s_add_i32 s40, s41, s40
	v_mov_b32_e32 v1, s40
	s_waitcnt vmcnt(0)
	v_add_co_u32_e32 v15, vcc, s42, v11
	v_addc_co_u32_e32 v16, vcc, v12, v1, vcc
	s_and_saveexec_b64 s[40:41], s[4:5]
	s_cbranch_execz .LBB2_853
; %bb.852:                              ;   in Loop: Header=BB2_448 Depth=1
	v_mov_b32_e32 v3, s36
	v_mov_b32_e32 v4, s37
	global_store_dwordx4 v[15:16], v[3:6], off offset:8
.LBB2_853:                              ;   in Loop: Header=BB2_448 Depth=1
	s_or_b64 exec, exec, s[40:41]
	s_lshl_b64 s[36:37], s[38:39], 12
	v_mov_b32_e32 v1, s37
	v_add_co_u32_e32 v13, vcc, s36, v13
	v_addc_co_u32_e32 v14, vcc, v14, v1, vcc
	v_and_or_b32 v7, v7, s33, 32
	v_mov_b32_e32 v9, v2
	v_mov_b32_e32 v10, v2
	v_readfirstlane_b32 s36, v13
	v_readfirstlane_b32 s37, v14
	s_nop 4
	global_store_dwordx4 v37, v[7:10], s[36:37]
	s_nop 0
	v_mov_b32_e32 v7, s12
	v_mov_b32_e32 v8, s13
	;; [unrolled: 1-line block ×4, first 2 shown]
	global_store_dwordx4 v37, v[7:10], s[36:37] offset:16
	global_store_dwordx4 v37, v[7:10], s[36:37] offset:32
	;; [unrolled: 1-line block ×3, first 2 shown]
	s_and_saveexec_b64 s[36:37], s[4:5]
	s_cbranch_execz .LBB2_861
; %bb.854:                              ;   in Loop: Header=BB2_448 Depth=1
	global_load_dwordx2 v[19:20], v2, s[34:35] offset:32 glc
	global_load_dwordx2 v[3:4], v2, s[34:35] offset:40
	v_mov_b32_e32 v17, s24
	v_mov_b32_e32 v18, s25
	s_waitcnt vmcnt(0)
	v_readfirstlane_b32 s38, v3
	v_readfirstlane_b32 s39, v4
	s_and_b64 s[38:39], s[38:39], s[24:25]
	s_mul_i32 s39, s39, 24
	s_mul_hi_u32 s40, s38, 24
	s_mul_i32 s38, s38, 24
	s_add_i32 s39, s40, s39
	v_mov_b32_e32 v1, s39
	v_add_co_u32_e32 v3, vcc, s38, v11
	v_addc_co_u32_e32 v4, vcc, v12, v1, vcc
	global_store_dwordx2 v[3:4], v[19:20], off
	s_waitcnt vmcnt(0)
	global_atomic_cmpswap_x2 v[9:10], v2, v[17:20], s[34:35] offset:32 glc
	s_waitcnt vmcnt(0)
	v_cmp_ne_u64_e32 vcc, v[9:10], v[19:20]
	s_and_saveexec_b64 s[38:39], vcc
	s_cbranch_execz .LBB2_857
; %bb.855:                              ;   in Loop: Header=BB2_448 Depth=1
	s_mov_b64 s[40:41], 0
.LBB2_856:                              ;   Parent Loop BB2_448 Depth=1
                                        ; =>  This Inner Loop Header: Depth=2
	s_sleep 1
	global_store_dwordx2 v[3:4], v[9:10], off
	v_mov_b32_e32 v7, s24
	v_mov_b32_e32 v8, s25
	s_waitcnt vmcnt(0)
	global_atomic_cmpswap_x2 v[7:8], v2, v[7:10], s[34:35] offset:32 glc
	s_waitcnt vmcnt(0)
	v_cmp_eq_u64_e32 vcc, v[7:8], v[9:10]
	v_mov_b32_e32 v10, v8
	s_or_b64 s[40:41], vcc, s[40:41]
	v_mov_b32_e32 v9, v7
	s_andn2_b64 exec, exec, s[40:41]
	s_cbranch_execnz .LBB2_856
.LBB2_857:                              ;   in Loop: Header=BB2_448 Depth=1
	s_or_b64 exec, exec, s[38:39]
	global_load_dwordx2 v[3:4], v2, s[34:35] offset:16
	s_mov_b64 s[40:41], exec
	v_mbcnt_lo_u32_b32 v1, s40, 0
	v_mbcnt_hi_u32_b32 v1, s41, v1
	v_cmp_eq_u32_e32 vcc, 0, v1
	s_and_saveexec_b64 s[38:39], vcc
	s_cbranch_execz .LBB2_859
; %bb.858:                              ;   in Loop: Header=BB2_448 Depth=1
	s_bcnt1_i32_b64 s40, s[40:41]
	v_mov_b32_e32 v1, s40
	s_waitcnt vmcnt(0)
	global_atomic_add_x2 v[3:4], v[1:2], off offset:8
.LBB2_859:                              ;   in Loop: Header=BB2_448 Depth=1
	s_or_b64 exec, exec, s[38:39]
	s_waitcnt vmcnt(0)
	global_load_dwordx2 v[7:8], v[3:4], off offset:16
	s_waitcnt vmcnt(0)
	v_cmp_eq_u64_e32 vcc, 0, v[7:8]
	s_cbranch_vccnz .LBB2_861
; %bb.860:                              ;   in Loop: Header=BB2_448 Depth=1
	global_load_dword v1, v[3:4], off offset:24
	s_waitcnt vmcnt(0)
	v_readfirstlane_b32 s38, v1
	s_and_b32 m0, s38, 0xffffff
	global_store_dwordx2 v[7:8], v[1:2], off
	s_sendmsg sendmsg(MSG_INTERRUPT)
.LBB2_861:                              ;   in Loop: Header=BB2_448 Depth=1
	s_or_b64 exec, exec, s[36:37]
	v_add_co_u32_e32 v3, vcc, v13, v37
	v_addc_co_u32_e32 v4, vcc, 0, v14, vcc
	s_branch .LBB2_865
.LBB2_862:                              ;   in Loop: Header=BB2_865 Depth=2
	s_or_b64 exec, exec, s[36:37]
	v_readfirstlane_b32 s36, v1
	s_cmp_eq_u32 s36, 0
	s_cbranch_scc1 .LBB2_864
; %bb.863:                              ;   in Loop: Header=BB2_865 Depth=2
	s_sleep 1
	s_cbranch_execnz .LBB2_865
	s_branch .LBB2_867
.LBB2_864:                              ;   in Loop: Header=BB2_448 Depth=1
	s_branch .LBB2_867
.LBB2_865:                              ;   Parent Loop BB2_448 Depth=1
                                        ; =>  This Inner Loop Header: Depth=2
	v_mov_b32_e32 v1, 1
	s_and_saveexec_b64 s[36:37], s[4:5]
	s_cbranch_execz .LBB2_862
; %bb.866:                              ;   in Loop: Header=BB2_865 Depth=2
	global_load_dword v1, v[15:16], off offset:20 glc
	s_waitcnt vmcnt(0)
	buffer_wbinvl1_vol
	v_and_b32_e32 v1, 1, v1
	s_branch .LBB2_862
.LBB2_867:                              ;   in Loop: Header=BB2_448 Depth=1
	global_load_dwordx2 v[9:10], v[3:4], off
	s_and_saveexec_b64 s[36:37], s[4:5]
	s_cbranch_execz .LBB2_871
; %bb.868:                              ;   in Loop: Header=BB2_448 Depth=1
	global_load_dwordx2 v[3:4], v2, s[34:35] offset:40
	global_load_dwordx2 v[15:16], v2, s[34:35] offset:24 glc
	global_load_dwordx2 v[7:8], v2, s[34:35]
	s_waitcnt vmcnt(2)
	v_readfirstlane_b32 s38, v3
	v_readfirstlane_b32 s39, v4
	s_add_u32 s40, s38, 1
	s_addc_u32 s41, s39, 0
	s_add_u32 s4, s40, s24
	s_addc_u32 s5, s41, s25
	s_cmp_eq_u64 s[4:5], 0
	s_cselect_b32 s5, s41, s5
	s_cselect_b32 s4, s40, s4
	s_and_b64 s[24:25], s[4:5], s[38:39]
	s_mul_i32 s25, s25, 24
	s_mul_hi_u32 s38, s24, 24
	s_mul_i32 s24, s24, 24
	s_add_i32 s25, s38, s25
	v_mov_b32_e32 v1, s25
	s_waitcnt vmcnt(0)
	v_add_co_u32_e32 v3, vcc, s24, v7
	v_addc_co_u32_e32 v4, vcc, v8, v1, vcc
	v_mov_b32_e32 v13, s4
	global_store_dwordx2 v[3:4], v[15:16], off
	v_mov_b32_e32 v14, s5
	s_waitcnt vmcnt(0)
	global_atomic_cmpswap_x2 v[13:14], v2, v[13:16], s[34:35] offset:24 glc
	s_waitcnt vmcnt(0)
	v_cmp_ne_u64_e32 vcc, v[13:14], v[15:16]
	s_and_b64 exec, exec, vcc
	s_cbranch_execz .LBB2_871
; %bb.869:                              ;   in Loop: Header=BB2_448 Depth=1
	s_mov_b64 s[24:25], 0
.LBB2_870:                              ;   Parent Loop BB2_448 Depth=1
                                        ; =>  This Inner Loop Header: Depth=2
	s_sleep 1
	global_store_dwordx2 v[3:4], v[13:14], off
	v_mov_b32_e32 v11, s4
	v_mov_b32_e32 v12, s5
	s_waitcnt vmcnt(0)
	global_atomic_cmpswap_x2 v[7:8], v2, v[11:14], s[34:35] offset:24 glc
	s_waitcnt vmcnt(0)
	v_cmp_eq_u64_e32 vcc, v[7:8], v[13:14]
	v_mov_b32_e32 v14, v8
	s_or_b64 s[24:25], vcc, s[24:25]
	v_mov_b32_e32 v13, v7
	s_andn2_b64 exec, exec, s[24:25]
	s_cbranch_execnz .LBB2_870
.LBB2_871:                              ;   in Loop: Header=BB2_448 Depth=1
	s_or_b64 exec, exec, s[36:37]
.LBB2_872:                              ;   in Loop: Header=BB2_448 Depth=1
	v_readfirstlane_b32 s4, v38
	v_mov_b32_e32 v3, 0
	v_mov_b32_e32 v4, 0
	v_cmp_eq_u32_e64 s[4:5], s4, v38
	s_and_saveexec_b64 s[24:25], s[4:5]
	s_cbranch_execz .LBB2_878
; %bb.873:                              ;   in Loop: Header=BB2_448 Depth=1
	global_load_dwordx2 v[13:14], v2, s[34:35] offset:24 glc
	s_waitcnt vmcnt(0)
	buffer_wbinvl1_vol
	global_load_dwordx2 v[3:4], v2, s[34:35] offset:40
	global_load_dwordx2 v[7:8], v2, s[34:35]
	s_waitcnt vmcnt(1)
	v_and_b32_e32 v1, v3, v13
	v_and_b32_e32 v3, v4, v14
	v_mul_lo_u32 v3, v3, 24
	v_mul_hi_u32 v4, v1, 24
	v_mul_lo_u32 v1, v1, 24
	v_add_u32_e32 v4, v4, v3
	s_waitcnt vmcnt(0)
	v_add_co_u32_e32 v3, vcc, v7, v1
	v_addc_co_u32_e32 v4, vcc, v8, v4, vcc
	global_load_dwordx2 v[11:12], v[3:4], off glc
	s_waitcnt vmcnt(0)
	global_atomic_cmpswap_x2 v[3:4], v2, v[11:14], s[34:35] offset:24 glc
	s_waitcnt vmcnt(0)
	buffer_wbinvl1_vol
	v_cmp_ne_u64_e32 vcc, v[3:4], v[13:14]
	s_and_saveexec_b64 s[36:37], vcc
	s_cbranch_execz .LBB2_877
; %bb.874:                              ;   in Loop: Header=BB2_448 Depth=1
	s_mov_b64 s[38:39], 0
.LBB2_875:                              ;   Parent Loop BB2_448 Depth=1
                                        ; =>  This Inner Loop Header: Depth=2
	s_sleep 1
	global_load_dwordx2 v[7:8], v2, s[34:35] offset:40
	global_load_dwordx2 v[11:12], v2, s[34:35]
	v_mov_b32_e32 v14, v4
	v_mov_b32_e32 v13, v3
	s_waitcnt vmcnt(1)
	v_and_b32_e32 v1, v7, v13
	s_waitcnt vmcnt(0)
	v_mad_u64_u32 v[3:4], s[40:41], v1, 24, v[11:12]
	v_and_b32_e32 v7, v8, v14
	v_mov_b32_e32 v1, v4
	v_mad_u64_u32 v[7:8], s[40:41], v7, 24, v[1:2]
	v_mov_b32_e32 v4, v7
	global_load_dwordx2 v[11:12], v[3:4], off glc
	s_waitcnt vmcnt(0)
	global_atomic_cmpswap_x2 v[3:4], v2, v[11:14], s[34:35] offset:24 glc
	s_waitcnt vmcnt(0)
	buffer_wbinvl1_vol
	v_cmp_eq_u64_e32 vcc, v[3:4], v[13:14]
	s_or_b64 s[38:39], vcc, s[38:39]
	s_andn2_b64 exec, exec, s[38:39]
	s_cbranch_execnz .LBB2_875
; %bb.876:                              ;   in Loop: Header=BB2_448 Depth=1
	s_or_b64 exec, exec, s[38:39]
.LBB2_877:                              ;   in Loop: Header=BB2_448 Depth=1
	s_or_b64 exec, exec, s[36:37]
.LBB2_878:                              ;   in Loop: Header=BB2_448 Depth=1
	s_or_b64 exec, exec, s[24:25]
	global_load_dwordx2 v[7:8], v2, s[34:35] offset:40
	global_load_dwordx4 v[13:16], v2, s[34:35]
	v_readfirstlane_b32 s25, v4
	v_readfirstlane_b32 s24, v3
	s_mov_b64 s[36:37], exec
	s_waitcnt vmcnt(1)
	v_readfirstlane_b32 s38, v7
	v_readfirstlane_b32 s39, v8
	s_and_b64 s[38:39], s[38:39], s[24:25]
	s_mul_i32 s40, s39, 24
	s_mul_hi_u32 s41, s38, 24
	s_mul_i32 s42, s38, 24
	s_add_i32 s40, s41, s40
	v_mov_b32_e32 v1, s40
	s_waitcnt vmcnt(0)
	v_add_co_u32_e32 v17, vcc, s42, v13
	v_addc_co_u32_e32 v18, vcc, v14, v1, vcc
	s_and_saveexec_b64 s[40:41], s[4:5]
	s_cbranch_execz .LBB2_880
; %bb.879:                              ;   in Loop: Header=BB2_448 Depth=1
	v_mov_b32_e32 v3, s36
	v_mov_b32_e32 v4, s37
	global_store_dwordx4 v[17:18], v[3:6], off offset:8
.LBB2_880:                              ;   in Loop: Header=BB2_448 Depth=1
	s_or_b64 exec, exec, s[40:41]
	s_lshl_b64 s[36:37], s[38:39], 12
	v_mov_b32_e32 v1, s37
	v_add_co_u32_e32 v3, vcc, s36, v15
	v_addc_co_u32_e32 v1, vcc, v16, v1, vcc
	s_ashr_i32 s29, s29, 1
	v_and_or_b32 v9, v9, s48, 34
	v_mov_b32_e32 v11, s29
	v_mov_b32_e32 v12, v2
	v_readfirstlane_b32 s36, v3
	v_readfirstlane_b32 s37, v1
	s_nop 4
	global_store_dwordx4 v37, v[9:12], s[36:37]
	v_mov_b32_e32 v7, s12
	v_mov_b32_e32 v8, s13
	;; [unrolled: 1-line block ×4, first 2 shown]
	global_store_dwordx4 v37, v[7:10], s[36:37] offset:16
	global_store_dwordx4 v37, v[7:10], s[36:37] offset:32
	;; [unrolled: 1-line block ×3, first 2 shown]
	s_and_saveexec_b64 s[36:37], s[4:5]
	s_cbranch_execz .LBB2_888
; %bb.881:                              ;   in Loop: Header=BB2_448 Depth=1
	global_load_dwordx2 v[11:12], v2, s[34:35] offset:32 glc
	global_load_dwordx2 v[3:4], v2, s[34:35] offset:40
	v_mov_b32_e32 v9, s24
	v_mov_b32_e32 v10, s25
	s_waitcnt vmcnt(0)
	v_readfirstlane_b32 s38, v3
	v_readfirstlane_b32 s39, v4
	s_and_b64 s[38:39], s[38:39], s[24:25]
	s_mul_i32 s29, s39, 24
	s_mul_hi_u32 s39, s38, 24
	s_mul_i32 s38, s38, 24
	s_add_i32 s29, s39, s29
	v_mov_b32_e32 v1, s29
	v_add_co_u32_e32 v3, vcc, s38, v13
	v_addc_co_u32_e32 v4, vcc, v14, v1, vcc
	global_store_dwordx2 v[3:4], v[11:12], off
	s_waitcnt vmcnt(0)
	global_atomic_cmpswap_x2 v[9:10], v2, v[9:12], s[34:35] offset:32 glc
	s_waitcnt vmcnt(0)
	v_cmp_ne_u64_e32 vcc, v[9:10], v[11:12]
	s_and_saveexec_b64 s[38:39], vcc
	s_cbranch_execz .LBB2_884
; %bb.882:                              ;   in Loop: Header=BB2_448 Depth=1
	s_mov_b64 s[40:41], 0
.LBB2_883:                              ;   Parent Loop BB2_448 Depth=1
                                        ; =>  This Inner Loop Header: Depth=2
	s_sleep 1
	global_store_dwordx2 v[3:4], v[9:10], off
	v_mov_b32_e32 v7, s24
	v_mov_b32_e32 v8, s25
	s_waitcnt vmcnt(0)
	global_atomic_cmpswap_x2 v[7:8], v2, v[7:10], s[34:35] offset:32 glc
	s_waitcnt vmcnt(0)
	v_cmp_eq_u64_e32 vcc, v[7:8], v[9:10]
	v_mov_b32_e32 v10, v8
	s_or_b64 s[40:41], vcc, s[40:41]
	v_mov_b32_e32 v9, v7
	s_andn2_b64 exec, exec, s[40:41]
	s_cbranch_execnz .LBB2_883
.LBB2_884:                              ;   in Loop: Header=BB2_448 Depth=1
	s_or_b64 exec, exec, s[38:39]
	global_load_dwordx2 v[3:4], v2, s[34:35] offset:16
	s_mov_b64 s[40:41], exec
	v_mbcnt_lo_u32_b32 v1, s40, 0
	v_mbcnt_hi_u32_b32 v1, s41, v1
	v_cmp_eq_u32_e32 vcc, 0, v1
	s_and_saveexec_b64 s[38:39], vcc
	s_cbranch_execz .LBB2_886
; %bb.885:                              ;   in Loop: Header=BB2_448 Depth=1
	s_bcnt1_i32_b64 s29, s[40:41]
	v_mov_b32_e32 v1, s29
	s_waitcnt vmcnt(0)
	global_atomic_add_x2 v[3:4], v[1:2], off offset:8
.LBB2_886:                              ;   in Loop: Header=BB2_448 Depth=1
	s_or_b64 exec, exec, s[38:39]
	s_waitcnt vmcnt(0)
	global_load_dwordx2 v[7:8], v[3:4], off offset:16
	s_waitcnt vmcnt(0)
	v_cmp_eq_u64_e32 vcc, 0, v[7:8]
	s_cbranch_vccnz .LBB2_888
; %bb.887:                              ;   in Loop: Header=BB2_448 Depth=1
	global_load_dword v1, v[3:4], off offset:24
	s_waitcnt vmcnt(0)
	v_readfirstlane_b32 s29, v1
	s_and_b32 m0, s29, 0xffffff
	global_store_dwordx2 v[7:8], v[1:2], off
	s_sendmsg sendmsg(MSG_INTERRUPT)
.LBB2_888:                              ;   in Loop: Header=BB2_448 Depth=1
	s_or_b64 exec, exec, s[36:37]
	s_branch .LBB2_892
.LBB2_889:                              ;   in Loop: Header=BB2_892 Depth=2
	s_or_b64 exec, exec, s[36:37]
	v_readfirstlane_b32 s29, v1
	s_cmp_eq_u32 s29, 0
	s_cbranch_scc1 .LBB2_891
; %bb.890:                              ;   in Loop: Header=BB2_892 Depth=2
	s_sleep 1
	s_cbranch_execnz .LBB2_892
	s_branch .LBB2_894
.LBB2_891:                              ;   in Loop: Header=BB2_448 Depth=1
	s_branch .LBB2_894
.LBB2_892:                              ;   Parent Loop BB2_448 Depth=1
                                        ; =>  This Inner Loop Header: Depth=2
	v_mov_b32_e32 v1, 1
	s_and_saveexec_b64 s[36:37], s[4:5]
	s_cbranch_execz .LBB2_889
; %bb.893:                              ;   in Loop: Header=BB2_892 Depth=2
	global_load_dword v1, v[17:18], off offset:20 glc
	s_waitcnt vmcnt(0)
	buffer_wbinvl1_vol
	v_and_b32_e32 v1, 1, v1
	s_branch .LBB2_889
.LBB2_894:                              ;   in Loop: Header=BB2_448 Depth=1
	s_and_saveexec_b64 s[36:37], s[4:5]
	s_cbranch_execz .LBB2_898
; %bb.895:                              ;   in Loop: Header=BB2_448 Depth=1
	global_load_dwordx2 v[3:4], v2, s[34:35] offset:40
	global_load_dwordx2 v[11:12], v2, s[34:35] offset:24 glc
	global_load_dwordx2 v[7:8], v2, s[34:35]
	s_waitcnt vmcnt(2)
	v_readfirstlane_b32 s38, v3
	v_readfirstlane_b32 s39, v4
	s_add_u32 s29, s38, 1
	s_addc_u32 s40, s39, 0
	s_add_u32 s4, s29, s24
	s_addc_u32 s5, s40, s25
	s_cmp_eq_u64 s[4:5], 0
	s_cselect_b32 s5, s40, s5
	s_cselect_b32 s4, s29, s4
	s_and_b64 s[24:25], s[4:5], s[38:39]
	s_mul_i32 s25, s25, 24
	s_mul_hi_u32 s29, s24, 24
	s_mul_i32 s24, s24, 24
	s_add_i32 s25, s29, s25
	v_mov_b32_e32 v1, s25
	s_waitcnt vmcnt(0)
	v_add_co_u32_e32 v3, vcc, s24, v7
	v_addc_co_u32_e32 v4, vcc, v8, v1, vcc
	v_mov_b32_e32 v9, s4
	global_store_dwordx2 v[3:4], v[11:12], off
	v_mov_b32_e32 v10, s5
	s_waitcnt vmcnt(0)
	global_atomic_cmpswap_x2 v[9:10], v2, v[9:12], s[34:35] offset:24 glc
	s_waitcnt vmcnt(0)
	v_cmp_ne_u64_e32 vcc, v[9:10], v[11:12]
	s_and_b64 exec, exec, vcc
	s_cbranch_execz .LBB2_898
; %bb.896:                              ;   in Loop: Header=BB2_448 Depth=1
	s_mov_b64 s[24:25], 0
.LBB2_897:                              ;   Parent Loop BB2_448 Depth=1
                                        ; =>  This Inner Loop Header: Depth=2
	s_sleep 1
	global_store_dwordx2 v[3:4], v[9:10], off
	v_mov_b32_e32 v7, s4
	v_mov_b32_e32 v8, s5
	s_waitcnt vmcnt(0)
	global_atomic_cmpswap_x2 v[7:8], v2, v[7:10], s[34:35] offset:24 glc
	s_waitcnt vmcnt(0)
	v_cmp_eq_u64_e32 vcc, v[7:8], v[9:10]
	v_mov_b32_e32 v10, v8
	s_or_b64 s[24:25], vcc, s[24:25]
	v_mov_b32_e32 v9, v7
	s_andn2_b64 exec, exec, s[24:25]
	s_cbranch_execnz .LBB2_897
.LBB2_898:                              ;   in Loop: Header=BB2_448 Depth=1
	s_or_b64 exec, exec, s[36:37]
	v_readfirstlane_b32 s4, v38
	v_mov_b32_e32 v3, 0
	v_mov_b32_e32 v4, 0
	v_cmp_eq_u32_e64 s[4:5], s4, v38
	s_and_saveexec_b64 s[24:25], s[4:5]
	s_cbranch_execz .LBB2_904
; %bb.899:                              ;   in Loop: Header=BB2_448 Depth=1
	global_load_dwordx2 v[9:10], v2, s[34:35] offset:24 glc
	s_waitcnt vmcnt(0)
	buffer_wbinvl1_vol
	global_load_dwordx2 v[3:4], v2, s[34:35] offset:40
	global_load_dwordx2 v[7:8], v2, s[34:35]
	s_waitcnt vmcnt(1)
	v_and_b32_e32 v1, v3, v9
	v_and_b32_e32 v3, v4, v10
	v_mul_lo_u32 v3, v3, 24
	v_mul_hi_u32 v4, v1, 24
	v_mul_lo_u32 v1, v1, 24
	v_add_u32_e32 v4, v4, v3
	s_waitcnt vmcnt(0)
	v_add_co_u32_e32 v3, vcc, v7, v1
	v_addc_co_u32_e32 v4, vcc, v8, v4, vcc
	global_load_dwordx2 v[7:8], v[3:4], off glc
	s_waitcnt vmcnt(0)
	global_atomic_cmpswap_x2 v[3:4], v2, v[7:10], s[34:35] offset:24 glc
	s_waitcnt vmcnt(0)
	buffer_wbinvl1_vol
	v_cmp_ne_u64_e32 vcc, v[3:4], v[9:10]
	s_and_saveexec_b64 s[36:37], vcc
	s_cbranch_execz .LBB2_903
; %bb.900:                              ;   in Loop: Header=BB2_448 Depth=1
	s_mov_b64 s[38:39], 0
.LBB2_901:                              ;   Parent Loop BB2_448 Depth=1
                                        ; =>  This Inner Loop Header: Depth=2
	s_sleep 1
	global_load_dwordx2 v[7:8], v2, s[34:35] offset:40
	global_load_dwordx2 v[11:12], v2, s[34:35]
	v_mov_b32_e32 v10, v4
	v_mov_b32_e32 v9, v3
	s_waitcnt vmcnt(1)
	v_and_b32_e32 v1, v7, v9
	s_waitcnt vmcnt(0)
	v_mad_u64_u32 v[3:4], s[40:41], v1, 24, v[11:12]
	v_and_b32_e32 v7, v8, v10
	v_mov_b32_e32 v1, v4
	v_mad_u64_u32 v[7:8], s[40:41], v7, 24, v[1:2]
	v_mov_b32_e32 v4, v7
	global_load_dwordx2 v[7:8], v[3:4], off glc
	s_waitcnt vmcnt(0)
	global_atomic_cmpswap_x2 v[3:4], v2, v[7:10], s[34:35] offset:24 glc
	s_waitcnt vmcnt(0)
	buffer_wbinvl1_vol
	v_cmp_eq_u64_e32 vcc, v[3:4], v[9:10]
	s_or_b64 s[38:39], vcc, s[38:39]
	s_andn2_b64 exec, exec, s[38:39]
	s_cbranch_execnz .LBB2_901
; %bb.902:                              ;   in Loop: Header=BB2_448 Depth=1
	s_or_b64 exec, exec, s[38:39]
.LBB2_903:                              ;   in Loop: Header=BB2_448 Depth=1
	s_or_b64 exec, exec, s[36:37]
.LBB2_904:                              ;   in Loop: Header=BB2_448 Depth=1
	s_or_b64 exec, exec, s[24:25]
	global_load_dwordx2 v[11:12], v2, s[34:35] offset:40
	global_load_dwordx4 v[7:10], v2, s[34:35]
	v_readfirstlane_b32 s25, v4
	v_readfirstlane_b32 s24, v3
	s_mov_b64 s[36:37], exec
	s_waitcnt vmcnt(1)
	v_readfirstlane_b32 s38, v11
	v_readfirstlane_b32 s39, v12
	s_and_b64 s[38:39], s[38:39], s[24:25]
	s_mul_i32 s29, s39, 24
	s_mul_hi_u32 s40, s38, 24
	s_mul_i32 s41, s38, 24
	s_add_i32 s29, s40, s29
	v_mov_b32_e32 v1, s29
	s_waitcnt vmcnt(0)
	v_add_co_u32_e32 v11, vcc, s41, v7
	v_addc_co_u32_e32 v12, vcc, v8, v1, vcc
	s_and_saveexec_b64 s[40:41], s[4:5]
	s_cbranch_execz .LBB2_906
; %bb.905:                              ;   in Loop: Header=BB2_448 Depth=1
	v_mov_b32_e32 v3, s36
	v_mov_b32_e32 v4, s37
	global_store_dwordx4 v[11:12], v[3:6], off offset:8
.LBB2_906:                              ;   in Loop: Header=BB2_448 Depth=1
	s_or_b64 exec, exec, s[40:41]
	s_lshl_b64 s[36:37], s[38:39], 12
	v_mov_b32_e32 v1, s37
	v_add_co_u32_e32 v13, vcc, s36, v9
	v_addc_co_u32_e32 v14, vcc, v10, v1, vcc
	v_mov_b32_e32 v18, s15
	v_mov_b32_e32 v1, v2
	;; [unrolled: 1-line block ×3, first 2 shown]
	v_readfirstlane_b32 s36, v13
	v_readfirstlane_b32 s37, v14
	v_mov_b32_e32 v17, s14
	v_mov_b32_e32 v16, s13
	;; [unrolled: 1-line block ×3, first 2 shown]
	s_nop 1
	global_store_dwordx4 v37, v[0:3], s[36:37]
	global_store_dwordx4 v37, v[15:18], s[36:37] offset:16
	global_store_dwordx4 v37, v[15:18], s[36:37] offset:32
	;; [unrolled: 1-line block ×3, first 2 shown]
	s_and_saveexec_b64 s[36:37], s[4:5]
	s_cbranch_execz .LBB2_914
; %bb.907:                              ;   in Loop: Header=BB2_448 Depth=1
	global_load_dwordx2 v[17:18], v2, s[34:35] offset:32 glc
	global_load_dwordx2 v[3:4], v2, s[34:35] offset:40
	v_mov_b32_e32 v15, s24
	v_mov_b32_e32 v16, s25
	s_waitcnt vmcnt(0)
	v_readfirstlane_b32 s38, v3
	v_readfirstlane_b32 s39, v4
	s_and_b64 s[38:39], s[38:39], s[24:25]
	s_mul_i32 s29, s39, 24
	s_mul_hi_u32 s39, s38, 24
	s_mul_i32 s38, s38, 24
	s_add_i32 s29, s39, s29
	v_mov_b32_e32 v1, s29
	v_add_co_u32_e32 v3, vcc, s38, v7
	v_addc_co_u32_e32 v4, vcc, v8, v1, vcc
	global_store_dwordx2 v[3:4], v[17:18], off
	s_waitcnt vmcnt(0)
	global_atomic_cmpswap_x2 v[9:10], v2, v[15:18], s[34:35] offset:32 glc
	s_waitcnt vmcnt(0)
	v_cmp_ne_u64_e32 vcc, v[9:10], v[17:18]
	s_and_saveexec_b64 s[38:39], vcc
	s_cbranch_execz .LBB2_910
; %bb.908:                              ;   in Loop: Header=BB2_448 Depth=1
	s_mov_b64 s[40:41], 0
.LBB2_909:                              ;   Parent Loop BB2_448 Depth=1
                                        ; =>  This Inner Loop Header: Depth=2
	s_sleep 1
	global_store_dwordx2 v[3:4], v[9:10], off
	v_mov_b32_e32 v7, s24
	v_mov_b32_e32 v8, s25
	s_waitcnt vmcnt(0)
	global_atomic_cmpswap_x2 v[7:8], v2, v[7:10], s[34:35] offset:32 glc
	s_waitcnt vmcnt(0)
	v_cmp_eq_u64_e32 vcc, v[7:8], v[9:10]
	v_mov_b32_e32 v10, v8
	s_or_b64 s[40:41], vcc, s[40:41]
	v_mov_b32_e32 v9, v7
	s_andn2_b64 exec, exec, s[40:41]
	s_cbranch_execnz .LBB2_909
.LBB2_910:                              ;   in Loop: Header=BB2_448 Depth=1
	s_or_b64 exec, exec, s[38:39]
	global_load_dwordx2 v[3:4], v2, s[34:35] offset:16
	s_mov_b64 s[40:41], exec
	v_mbcnt_lo_u32_b32 v1, s40, 0
	v_mbcnt_hi_u32_b32 v1, s41, v1
	v_cmp_eq_u32_e32 vcc, 0, v1
	s_and_saveexec_b64 s[38:39], vcc
	s_cbranch_execz .LBB2_912
; %bb.911:                              ;   in Loop: Header=BB2_448 Depth=1
	s_bcnt1_i32_b64 s29, s[40:41]
	v_mov_b32_e32 v1, s29
	s_waitcnt vmcnt(0)
	global_atomic_add_x2 v[3:4], v[1:2], off offset:8
.LBB2_912:                              ;   in Loop: Header=BB2_448 Depth=1
	s_or_b64 exec, exec, s[38:39]
	s_waitcnt vmcnt(0)
	global_load_dwordx2 v[7:8], v[3:4], off offset:16
	s_waitcnt vmcnt(0)
	v_cmp_eq_u64_e32 vcc, 0, v[7:8]
	s_cbranch_vccnz .LBB2_914
; %bb.913:                              ;   in Loop: Header=BB2_448 Depth=1
	global_load_dword v1, v[3:4], off offset:24
	s_waitcnt vmcnt(0)
	v_readfirstlane_b32 s29, v1
	s_and_b32 m0, s29, 0xffffff
	global_store_dwordx2 v[7:8], v[1:2], off
	s_sendmsg sendmsg(MSG_INTERRUPT)
.LBB2_914:                              ;   in Loop: Header=BB2_448 Depth=1
	s_or_b64 exec, exec, s[36:37]
	v_add_co_u32_e32 v3, vcc, v13, v37
	v_addc_co_u32_e32 v4, vcc, 0, v14, vcc
	s_branch .LBB2_918
.LBB2_915:                              ;   in Loop: Header=BB2_918 Depth=2
	s_or_b64 exec, exec, s[36:37]
	v_readfirstlane_b32 s29, v1
	s_cmp_eq_u32 s29, 0
	s_cbranch_scc1 .LBB2_917
; %bb.916:                              ;   in Loop: Header=BB2_918 Depth=2
	s_sleep 1
	s_cbranch_execnz .LBB2_918
	s_branch .LBB2_920
.LBB2_917:                              ;   in Loop: Header=BB2_448 Depth=1
	s_branch .LBB2_920
.LBB2_918:                              ;   Parent Loop BB2_448 Depth=1
                                        ; =>  This Inner Loop Header: Depth=2
	v_mov_b32_e32 v1, 1
	s_and_saveexec_b64 s[36:37], s[4:5]
	s_cbranch_execz .LBB2_915
; %bb.919:                              ;   in Loop: Header=BB2_918 Depth=2
	global_load_dword v1, v[11:12], off offset:20 glc
	s_waitcnt vmcnt(0)
	buffer_wbinvl1_vol
	v_and_b32_e32 v1, 1, v1
	s_branch .LBB2_915
.LBB2_920:                              ;   in Loop: Header=BB2_448 Depth=1
	global_load_dwordx2 v[11:12], v[3:4], off
	s_and_saveexec_b64 s[36:37], s[4:5]
	s_cbranch_execz .LBB2_924
; %bb.921:                              ;   in Loop: Header=BB2_448 Depth=1
	global_load_dwordx2 v[3:4], v2, s[34:35] offset:40
	global_load_dwordx2 v[15:16], v2, s[34:35] offset:24 glc
	global_load_dwordx2 v[7:8], v2, s[34:35]
	s_waitcnt vmcnt(2)
	v_readfirstlane_b32 s38, v3
	v_readfirstlane_b32 s39, v4
	s_add_u32 s29, s38, 1
	s_addc_u32 s40, s39, 0
	s_add_u32 s4, s29, s24
	s_addc_u32 s5, s40, s25
	s_cmp_eq_u64 s[4:5], 0
	s_cselect_b32 s5, s40, s5
	s_cselect_b32 s4, s29, s4
	s_and_b64 s[24:25], s[4:5], s[38:39]
	s_mul_i32 s25, s25, 24
	s_mul_hi_u32 s29, s24, 24
	s_mul_i32 s24, s24, 24
	s_add_i32 s25, s29, s25
	v_mov_b32_e32 v1, s25
	s_waitcnt vmcnt(0)
	v_add_co_u32_e32 v3, vcc, s24, v7
	v_addc_co_u32_e32 v4, vcc, v8, v1, vcc
	v_mov_b32_e32 v13, s4
	global_store_dwordx2 v[3:4], v[15:16], off
	v_mov_b32_e32 v14, s5
	s_waitcnt vmcnt(0)
	global_atomic_cmpswap_x2 v[9:10], v2, v[13:16], s[34:35] offset:24 glc
	s_waitcnt vmcnt(0)
	v_cmp_ne_u64_e32 vcc, v[9:10], v[15:16]
	s_and_b64 exec, exec, vcc
	s_cbranch_execz .LBB2_924
; %bb.922:                              ;   in Loop: Header=BB2_448 Depth=1
	s_mov_b64 s[24:25], 0
.LBB2_923:                              ;   Parent Loop BB2_448 Depth=1
                                        ; =>  This Inner Loop Header: Depth=2
	s_sleep 1
	global_store_dwordx2 v[3:4], v[9:10], off
	v_mov_b32_e32 v7, s4
	v_mov_b32_e32 v8, s5
	s_waitcnt vmcnt(0)
	global_atomic_cmpswap_x2 v[7:8], v2, v[7:10], s[34:35] offset:24 glc
	s_waitcnt vmcnt(0)
	v_cmp_eq_u64_e32 vcc, v[7:8], v[9:10]
	v_mov_b32_e32 v10, v8
	s_or_b64 s[24:25], vcc, s[24:25]
	v_mov_b32_e32 v9, v7
	s_andn2_b64 exec, exec, s[24:25]
	s_cbranch_execnz .LBB2_923
.LBB2_924:                              ;   in Loop: Header=BB2_448 Depth=1
	s_or_b64 exec, exec, s[36:37]
	s_and_b64 vcc, exec, s[20:21]
	s_cbranch_vccz .LBB2_1010
; %bb.925:                              ;   in Loop: Header=BB2_448 Depth=1
	s_waitcnt vmcnt(0)
	v_and_b32_e32 v7, -3, v11
	v_mov_b32_e32 v8, v12
	s_mov_b64 s[36:37], 6
	s_getpc_b64 s[24:25]
	s_add_u32 s24, s24, .str.5@rel32@lo+4
	s_addc_u32 s25, s25, .str.5@rel32@hi+12
	s_branch .LBB2_927
.LBB2_926:                              ;   in Loop: Header=BB2_927 Depth=2
	s_or_b64 exec, exec, s[42:43]
	s_sub_u32 s36, s36, s38
	s_subb_u32 s37, s37, s39
	s_add_u32 s24, s24, s38
	s_addc_u32 s25, s25, s39
	s_cmp_lg_u64 s[36:37], 0
	s_cbranch_scc0 .LBB2_1009
.LBB2_927:                              ;   Parent Loop BB2_448 Depth=1
                                        ; =>  This Loop Header: Depth=2
                                        ;       Child Loop BB2_930 Depth 3
                                        ;       Child Loop BB2_938 Depth 3
	;; [unrolled: 1-line block ×11, first 2 shown]
	v_cmp_lt_u64_e64 s[4:5], s[36:37], 56
	v_cmp_gt_u64_e64 s[40:41], s[36:37], 7
	s_and_b64 s[4:5], s[4:5], exec
	s_cselect_b32 s39, s37, 0
	s_cselect_b32 s38, s36, 56
	s_add_u32 s4, s24, 8
	s_addc_u32 s5, s25, 0
	s_and_b64 vcc, exec, s[40:41]
	s_cbranch_vccnz .LBB2_931
; %bb.928:                              ;   in Loop: Header=BB2_927 Depth=2
	s_cmp_eq_u64 s[36:37], 0
	s_cbranch_scc1 .LBB2_932
; %bb.929:                              ;   in Loop: Header=BB2_927 Depth=2
	v_mov_b32_e32 v9, 0
	s_lshl_b64 s[4:5], s[38:39], 3
	s_mov_b64 s[40:41], 0
	v_mov_b32_e32 v10, 0
	s_mov_b64 s[42:43], s[24:25]
.LBB2_930:                              ;   Parent Loop BB2_448 Depth=1
                                        ;     Parent Loop BB2_927 Depth=2
                                        ; =>    This Inner Loop Header: Depth=3
	global_load_ubyte v1, v2, s[42:43]
	s_waitcnt vmcnt(0)
	v_and_b32_e32 v1, 0xffff, v1
	v_lshlrev_b64 v[3:4], s40, v[1:2]
	s_add_u32 s40, s40, 8
	s_addc_u32 s41, s41, 0
	s_add_u32 s42, s42, 1
	s_addc_u32 s43, s43, 0
	v_or_b32_e32 v9, v3, v9
	s_cmp_lg_u32 s4, s40
	v_or_b32_e32 v10, v4, v10
	s_cbranch_scc1 .LBB2_930
	s_branch .LBB2_933
.LBB2_931:                              ;   in Loop: Header=BB2_927 Depth=2
	s_mov_b32 s29, 0
	s_branch .LBB2_934
.LBB2_932:                              ;   in Loop: Header=BB2_927 Depth=2
	v_mov_b32_e32 v9, 0
	v_mov_b32_e32 v10, 0
.LBB2_933:                              ;   in Loop: Header=BB2_927 Depth=2
	s_mov_b64 s[4:5], s[24:25]
	s_mov_b32 s29, 0
	s_cbranch_execnz .LBB2_935
.LBB2_934:                              ;   in Loop: Header=BB2_927 Depth=2
	global_load_dwordx2 v[9:10], v2, s[24:25]
	s_add_i32 s29, s38, -8
.LBB2_935:                              ;   in Loop: Header=BB2_927 Depth=2
	s_add_u32 s40, s4, 8
	s_addc_u32 s41, s5, 0
	s_cmp_gt_u32 s29, 7
	s_cbranch_scc1 .LBB2_939
; %bb.936:                              ;   in Loop: Header=BB2_927 Depth=2
	s_cmp_eq_u32 s29, 0
	s_cbranch_scc1 .LBB2_940
; %bb.937:                              ;   in Loop: Header=BB2_927 Depth=2
	v_mov_b32_e32 v13, 0
	s_mov_b64 s[40:41], 0
	v_mov_b32_e32 v14, 0
	s_mov_b64 s[42:43], 0
.LBB2_938:                              ;   Parent Loop BB2_448 Depth=1
                                        ;     Parent Loop BB2_927 Depth=2
                                        ; =>    This Inner Loop Header: Depth=3
	s_add_u32 s44, s4, s42
	s_addc_u32 s45, s5, s43
	global_load_ubyte v1, v2, s[44:45]
	s_add_u32 s42, s42, 1
	s_addc_u32 s43, s43, 0
	s_waitcnt vmcnt(0)
	v_and_b32_e32 v1, 0xffff, v1
	v_lshlrev_b64 v[3:4], s40, v[1:2]
	s_add_u32 s40, s40, 8
	s_addc_u32 s41, s41, 0
	v_or_b32_e32 v13, v3, v13
	s_cmp_lg_u32 s29, s42
	v_or_b32_e32 v14, v4, v14
	s_cbranch_scc1 .LBB2_938
	s_branch .LBB2_941
.LBB2_939:                              ;   in Loop: Header=BB2_927 Depth=2
                                        ; implicit-def: $vgpr13_vgpr14
	s_mov_b32 s44, 0
	s_branch .LBB2_942
.LBB2_940:                              ;   in Loop: Header=BB2_927 Depth=2
	v_mov_b32_e32 v13, 0
	v_mov_b32_e32 v14, 0
.LBB2_941:                              ;   in Loop: Header=BB2_927 Depth=2
	s_mov_b64 s[40:41], s[4:5]
	s_mov_b32 s44, 0
	s_cbranch_execnz .LBB2_943
.LBB2_942:                              ;   in Loop: Header=BB2_927 Depth=2
	global_load_dwordx2 v[13:14], v2, s[4:5]
	s_add_i32 s44, s29, -8
.LBB2_943:                              ;   in Loop: Header=BB2_927 Depth=2
	s_add_u32 s4, s40, 8
	s_addc_u32 s5, s41, 0
	s_cmp_gt_u32 s44, 7
	s_cbranch_scc1 .LBB2_947
; %bb.944:                              ;   in Loop: Header=BB2_927 Depth=2
	s_cmp_eq_u32 s44, 0
	s_cbranch_scc1 .LBB2_948
; %bb.945:                              ;   in Loop: Header=BB2_927 Depth=2
	v_mov_b32_e32 v15, 0
	s_mov_b64 s[4:5], 0
	v_mov_b32_e32 v16, 0
	s_mov_b64 s[42:43], 0
.LBB2_946:                              ;   Parent Loop BB2_448 Depth=1
                                        ;     Parent Loop BB2_927 Depth=2
                                        ; =>    This Inner Loop Header: Depth=3
	s_add_u32 s46, s40, s42
	s_addc_u32 s47, s41, s43
	global_load_ubyte v1, v2, s[46:47]
	s_add_u32 s42, s42, 1
	s_addc_u32 s43, s43, 0
	s_waitcnt vmcnt(0)
	v_and_b32_e32 v1, 0xffff, v1
	v_lshlrev_b64 v[3:4], s4, v[1:2]
	s_add_u32 s4, s4, 8
	s_addc_u32 s5, s5, 0
	v_or_b32_e32 v15, v3, v15
	s_cmp_lg_u32 s44, s42
	v_or_b32_e32 v16, v4, v16
	s_cbranch_scc1 .LBB2_946
	s_branch .LBB2_949
.LBB2_947:                              ;   in Loop: Header=BB2_927 Depth=2
	s_mov_b32 s29, 0
	s_branch .LBB2_950
.LBB2_948:                              ;   in Loop: Header=BB2_927 Depth=2
	v_mov_b32_e32 v15, 0
	v_mov_b32_e32 v16, 0
.LBB2_949:                              ;   in Loop: Header=BB2_927 Depth=2
	s_mov_b64 s[4:5], s[40:41]
	s_mov_b32 s29, 0
	s_cbranch_execnz .LBB2_951
.LBB2_950:                              ;   in Loop: Header=BB2_927 Depth=2
	global_load_dwordx2 v[15:16], v2, s[40:41]
	s_add_i32 s29, s44, -8
.LBB2_951:                              ;   in Loop: Header=BB2_927 Depth=2
	s_add_u32 s40, s4, 8
	s_addc_u32 s41, s5, 0
	s_cmp_gt_u32 s29, 7
	s_cbranch_scc1 .LBB2_955
; %bb.952:                              ;   in Loop: Header=BB2_927 Depth=2
	s_cmp_eq_u32 s29, 0
	s_cbranch_scc1 .LBB2_956
; %bb.953:                              ;   in Loop: Header=BB2_927 Depth=2
	v_mov_b32_e32 v17, 0
	s_mov_b64 s[40:41], 0
	v_mov_b32_e32 v18, 0
	s_mov_b64 s[42:43], 0
.LBB2_954:                              ;   Parent Loop BB2_448 Depth=1
                                        ;     Parent Loop BB2_927 Depth=2
                                        ; =>    This Inner Loop Header: Depth=3
	s_add_u32 s44, s4, s42
	s_addc_u32 s45, s5, s43
	global_load_ubyte v1, v2, s[44:45]
	s_add_u32 s42, s42, 1
	s_addc_u32 s43, s43, 0
	s_waitcnt vmcnt(0)
	v_and_b32_e32 v1, 0xffff, v1
	v_lshlrev_b64 v[3:4], s40, v[1:2]
	s_add_u32 s40, s40, 8
	s_addc_u32 s41, s41, 0
	v_or_b32_e32 v17, v3, v17
	s_cmp_lg_u32 s29, s42
	v_or_b32_e32 v18, v4, v18
	s_cbranch_scc1 .LBB2_954
	s_branch .LBB2_957
.LBB2_955:                              ;   in Loop: Header=BB2_927 Depth=2
                                        ; implicit-def: $vgpr17_vgpr18
	s_mov_b32 s44, 0
	s_branch .LBB2_958
.LBB2_956:                              ;   in Loop: Header=BB2_927 Depth=2
	v_mov_b32_e32 v17, 0
	v_mov_b32_e32 v18, 0
.LBB2_957:                              ;   in Loop: Header=BB2_927 Depth=2
	s_mov_b64 s[40:41], s[4:5]
	s_mov_b32 s44, 0
	s_cbranch_execnz .LBB2_959
.LBB2_958:                              ;   in Loop: Header=BB2_927 Depth=2
	global_load_dwordx2 v[17:18], v2, s[4:5]
	s_add_i32 s44, s29, -8
.LBB2_959:                              ;   in Loop: Header=BB2_927 Depth=2
	s_add_u32 s4, s40, 8
	s_addc_u32 s5, s41, 0
	s_cmp_gt_u32 s44, 7
	s_cbranch_scc1 .LBB2_963
; %bb.960:                              ;   in Loop: Header=BB2_927 Depth=2
	s_cmp_eq_u32 s44, 0
	s_cbranch_scc1 .LBB2_964
; %bb.961:                              ;   in Loop: Header=BB2_927 Depth=2
	v_mov_b32_e32 v19, 0
	s_mov_b64 s[4:5], 0
	v_mov_b32_e32 v20, 0
	s_mov_b64 s[42:43], 0
.LBB2_962:                              ;   Parent Loop BB2_448 Depth=1
                                        ;     Parent Loop BB2_927 Depth=2
                                        ; =>    This Inner Loop Header: Depth=3
	s_add_u32 s46, s40, s42
	s_addc_u32 s47, s41, s43
	global_load_ubyte v1, v2, s[46:47]
	s_add_u32 s42, s42, 1
	s_addc_u32 s43, s43, 0
	s_waitcnt vmcnt(0)
	v_and_b32_e32 v1, 0xffff, v1
	v_lshlrev_b64 v[3:4], s4, v[1:2]
	s_add_u32 s4, s4, 8
	s_addc_u32 s5, s5, 0
	v_or_b32_e32 v19, v3, v19
	s_cmp_lg_u32 s44, s42
	v_or_b32_e32 v20, v4, v20
	s_cbranch_scc1 .LBB2_962
	s_branch .LBB2_965
.LBB2_963:                              ;   in Loop: Header=BB2_927 Depth=2
	s_mov_b32 s29, 0
	s_branch .LBB2_966
.LBB2_964:                              ;   in Loop: Header=BB2_927 Depth=2
	v_mov_b32_e32 v19, 0
	v_mov_b32_e32 v20, 0
.LBB2_965:                              ;   in Loop: Header=BB2_927 Depth=2
	s_mov_b64 s[4:5], s[40:41]
	s_mov_b32 s29, 0
	s_cbranch_execnz .LBB2_967
.LBB2_966:                              ;   in Loop: Header=BB2_927 Depth=2
	global_load_dwordx2 v[19:20], v2, s[40:41]
	s_add_i32 s29, s44, -8
.LBB2_967:                              ;   in Loop: Header=BB2_927 Depth=2
	s_add_u32 s40, s4, 8
	s_addc_u32 s41, s5, 0
	s_cmp_gt_u32 s29, 7
	s_cbranch_scc1 .LBB2_971
; %bb.968:                              ;   in Loop: Header=BB2_927 Depth=2
	s_cmp_eq_u32 s29, 0
	s_cbranch_scc1 .LBB2_972
; %bb.969:                              ;   in Loop: Header=BB2_927 Depth=2
	v_mov_b32_e32 v21, 0
	s_mov_b64 s[40:41], 0
	v_mov_b32_e32 v22, 0
	s_mov_b64 s[42:43], 0
.LBB2_970:                              ;   Parent Loop BB2_448 Depth=1
                                        ;     Parent Loop BB2_927 Depth=2
                                        ; =>    This Inner Loop Header: Depth=3
	s_add_u32 s44, s4, s42
	s_addc_u32 s45, s5, s43
	global_load_ubyte v1, v2, s[44:45]
	s_add_u32 s42, s42, 1
	s_addc_u32 s43, s43, 0
	s_waitcnt vmcnt(0)
	v_and_b32_e32 v1, 0xffff, v1
	v_lshlrev_b64 v[3:4], s40, v[1:2]
	s_add_u32 s40, s40, 8
	s_addc_u32 s41, s41, 0
	v_or_b32_e32 v21, v3, v21
	s_cmp_lg_u32 s29, s42
	v_or_b32_e32 v22, v4, v22
	s_cbranch_scc1 .LBB2_970
	s_branch .LBB2_973
.LBB2_971:                              ;   in Loop: Header=BB2_927 Depth=2
                                        ; implicit-def: $vgpr21_vgpr22
	s_mov_b32 s44, 0
	s_branch .LBB2_974
.LBB2_972:                              ;   in Loop: Header=BB2_927 Depth=2
	v_mov_b32_e32 v21, 0
	v_mov_b32_e32 v22, 0
.LBB2_973:                              ;   in Loop: Header=BB2_927 Depth=2
	s_mov_b64 s[40:41], s[4:5]
	s_mov_b32 s44, 0
	s_cbranch_execnz .LBB2_975
.LBB2_974:                              ;   in Loop: Header=BB2_927 Depth=2
	global_load_dwordx2 v[21:22], v2, s[4:5]
	s_add_i32 s44, s29, -8
.LBB2_975:                              ;   in Loop: Header=BB2_927 Depth=2
	s_cmp_gt_u32 s44, 7
	s_cbranch_scc1 .LBB2_979
; %bb.976:                              ;   in Loop: Header=BB2_927 Depth=2
	s_cmp_eq_u32 s44, 0
	s_cbranch_scc1 .LBB2_980
; %bb.977:                              ;   in Loop: Header=BB2_927 Depth=2
	v_mov_b32_e32 v23, 0
	s_mov_b64 s[4:5], 0
	v_mov_b32_e32 v24, 0
	s_mov_b64 s[42:43], s[40:41]
.LBB2_978:                              ;   Parent Loop BB2_448 Depth=1
                                        ;     Parent Loop BB2_927 Depth=2
                                        ; =>    This Inner Loop Header: Depth=3
	global_load_ubyte v1, v2, s[42:43]
	s_add_i32 s44, s44, -1
	s_waitcnt vmcnt(0)
	v_and_b32_e32 v1, 0xffff, v1
	v_lshlrev_b64 v[3:4], s4, v[1:2]
	s_add_u32 s4, s4, 8
	s_addc_u32 s5, s5, 0
	s_add_u32 s42, s42, 1
	s_addc_u32 s43, s43, 0
	v_or_b32_e32 v23, v3, v23
	s_cmp_lg_u32 s44, 0
	v_or_b32_e32 v24, v4, v24
	s_cbranch_scc1 .LBB2_978
	s_branch .LBB2_981
.LBB2_979:                              ;   in Loop: Header=BB2_927 Depth=2
	s_branch .LBB2_982
.LBB2_980:                              ;   in Loop: Header=BB2_927 Depth=2
	v_mov_b32_e32 v23, 0
	v_mov_b32_e32 v24, 0
.LBB2_981:                              ;   in Loop: Header=BB2_927 Depth=2
	s_cbranch_execnz .LBB2_983
.LBB2_982:                              ;   in Loop: Header=BB2_927 Depth=2
	global_load_dwordx2 v[23:24], v2, s[40:41]
.LBB2_983:                              ;   in Loop: Header=BB2_927 Depth=2
	v_readfirstlane_b32 s4, v38
	v_mov_b32_e32 v3, 0
	v_mov_b32_e32 v4, 0
	v_cmp_eq_u32_e64 s[4:5], s4, v38
	s_and_saveexec_b64 s[40:41], s[4:5]
	s_cbranch_execz .LBB2_989
; %bb.984:                              ;   in Loop: Header=BB2_927 Depth=2
	global_load_dwordx2 v[27:28], v2, s[34:35] offset:24 glc
	s_waitcnt vmcnt(0)
	buffer_wbinvl1_vol
	global_load_dwordx2 v[3:4], v2, s[34:35] offset:40
	global_load_dwordx2 v[25:26], v2, s[34:35]
	s_waitcnt vmcnt(1)
	v_and_b32_e32 v1, v3, v27
	v_and_b32_e32 v3, v4, v28
	v_mul_lo_u32 v3, v3, 24
	v_mul_hi_u32 v4, v1, 24
	v_mul_lo_u32 v1, v1, 24
	v_add_u32_e32 v4, v4, v3
	s_waitcnt vmcnt(0)
	v_add_co_u32_e32 v3, vcc, v25, v1
	v_addc_co_u32_e32 v4, vcc, v26, v4, vcc
	global_load_dwordx2 v[25:26], v[3:4], off glc
	s_waitcnt vmcnt(0)
	global_atomic_cmpswap_x2 v[3:4], v2, v[25:28], s[34:35] offset:24 glc
	s_waitcnt vmcnt(0)
	buffer_wbinvl1_vol
	v_cmp_ne_u64_e32 vcc, v[3:4], v[27:28]
	s_and_saveexec_b64 s[42:43], vcc
	s_cbranch_execz .LBB2_988
; %bb.985:                              ;   in Loop: Header=BB2_927 Depth=2
	s_mov_b64 s[44:45], 0
.LBB2_986:                              ;   Parent Loop BB2_448 Depth=1
                                        ;     Parent Loop BB2_927 Depth=2
                                        ; =>    This Inner Loop Header: Depth=3
	s_sleep 1
	global_load_dwordx2 v[25:26], v2, s[34:35] offset:40
	global_load_dwordx2 v[29:30], v2, s[34:35]
	v_mov_b32_e32 v28, v4
	v_mov_b32_e32 v27, v3
	s_waitcnt vmcnt(1)
	v_and_b32_e32 v1, v25, v27
	s_waitcnt vmcnt(0)
	v_mad_u64_u32 v[3:4], s[46:47], v1, 24, v[29:30]
	v_and_b32_e32 v25, v26, v28
	v_mov_b32_e32 v1, v4
	v_mad_u64_u32 v[25:26], s[46:47], v25, 24, v[1:2]
	v_mov_b32_e32 v4, v25
	global_load_dwordx2 v[25:26], v[3:4], off glc
	s_waitcnt vmcnt(0)
	global_atomic_cmpswap_x2 v[3:4], v2, v[25:28], s[34:35] offset:24 glc
	s_waitcnt vmcnt(0)
	buffer_wbinvl1_vol
	v_cmp_eq_u64_e32 vcc, v[3:4], v[27:28]
	s_or_b64 s[44:45], vcc, s[44:45]
	s_andn2_b64 exec, exec, s[44:45]
	s_cbranch_execnz .LBB2_986
; %bb.987:                              ;   in Loop: Header=BB2_927 Depth=2
	s_or_b64 exec, exec, s[44:45]
.LBB2_988:                              ;   in Loop: Header=BB2_927 Depth=2
	s_or_b64 exec, exec, s[42:43]
.LBB2_989:                              ;   in Loop: Header=BB2_927 Depth=2
	s_or_b64 exec, exec, s[40:41]
	global_load_dwordx2 v[29:30], v2, s[34:35] offset:40
	global_load_dwordx4 v[25:28], v2, s[34:35]
	v_readfirstlane_b32 s41, v4
	v_readfirstlane_b32 s40, v3
	s_mov_b64 s[42:43], exec
	s_waitcnt vmcnt(1)
	v_readfirstlane_b32 s44, v29
	v_readfirstlane_b32 s45, v30
	s_and_b64 s[44:45], s[44:45], s[40:41]
	s_mul_i32 s29, s45, 24
	s_mul_hi_u32 s46, s44, 24
	s_mul_i32 s47, s44, 24
	s_add_i32 s29, s46, s29
	v_mov_b32_e32 v1, s29
	s_waitcnt vmcnt(0)
	v_add_co_u32_e32 v29, vcc, s47, v25
	v_addc_co_u32_e32 v30, vcc, v26, v1, vcc
	s_and_saveexec_b64 s[46:47], s[4:5]
	s_cbranch_execz .LBB2_991
; %bb.990:                              ;   in Loop: Header=BB2_927 Depth=2
	v_mov_b32_e32 v3, s42
	v_mov_b32_e32 v4, s43
	global_store_dwordx4 v[29:30], v[3:6], off offset:8
.LBB2_991:                              ;   in Loop: Header=BB2_927 Depth=2
	s_or_b64 exec, exec, s[46:47]
	s_lshl_b64 s[42:43], s[44:45], 12
	v_mov_b32_e32 v1, s43
	v_add_co_u32_e32 v27, vcc, s42, v27
	v_addc_co_u32_e32 v28, vcc, v28, v1, vcc
	v_cmp_lt_u64_e64 vcc, s[36:37], 57
	v_and_b32_e32 v1, 2, v11
	s_lshl_b32 s29, s38, 2
	v_cndmask_b32_e32 v1, 0, v1, vcc
	s_add_i32 s29, s29, 28
	v_and_b32_e32 v3, 0xffffff1f, v7
	s_and_b32 s29, s29, 0x1e0
	v_or_b32_e32 v1, v3, v1
	v_or_b32_e32 v7, s29, v1
	v_readfirstlane_b32 s42, v27
	v_readfirstlane_b32 s43, v28
	s_nop 4
	global_store_dwordx4 v37, v[7:10], s[42:43]
	global_store_dwordx4 v37, v[13:16], s[42:43] offset:16
	global_store_dwordx4 v37, v[17:20], s[42:43] offset:32
	;; [unrolled: 1-line block ×3, first 2 shown]
	s_and_saveexec_b64 s[42:43], s[4:5]
	s_cbranch_execz .LBB2_999
; %bb.992:                              ;   in Loop: Header=BB2_927 Depth=2
	global_load_dwordx2 v[15:16], v2, s[34:35] offset:32 glc
	global_load_dwordx2 v[3:4], v2, s[34:35] offset:40
	v_mov_b32_e32 v13, s40
	v_mov_b32_e32 v14, s41
	s_waitcnt vmcnt(0)
	v_readfirstlane_b32 s44, v3
	v_readfirstlane_b32 s45, v4
	s_and_b64 s[44:45], s[44:45], s[40:41]
	s_mul_i32 s29, s45, 24
	s_mul_hi_u32 s45, s44, 24
	s_mul_i32 s44, s44, 24
	s_add_i32 s29, s45, s29
	v_mov_b32_e32 v1, s29
	v_add_co_u32_e32 v3, vcc, s44, v25
	v_addc_co_u32_e32 v4, vcc, v26, v1, vcc
	global_store_dwordx2 v[3:4], v[15:16], off
	s_waitcnt vmcnt(0)
	global_atomic_cmpswap_x2 v[9:10], v2, v[13:16], s[34:35] offset:32 glc
	s_waitcnt vmcnt(0)
	v_cmp_ne_u64_e32 vcc, v[9:10], v[15:16]
	s_and_saveexec_b64 s[44:45], vcc
	s_cbranch_execz .LBB2_995
; %bb.993:                              ;   in Loop: Header=BB2_927 Depth=2
	s_mov_b64 s[46:47], 0
.LBB2_994:                              ;   Parent Loop BB2_448 Depth=1
                                        ;     Parent Loop BB2_927 Depth=2
                                        ; =>    This Inner Loop Header: Depth=3
	s_sleep 1
	global_store_dwordx2 v[3:4], v[9:10], off
	v_mov_b32_e32 v7, s40
	v_mov_b32_e32 v8, s41
	s_waitcnt vmcnt(0)
	global_atomic_cmpswap_x2 v[7:8], v2, v[7:10], s[34:35] offset:32 glc
	s_waitcnt vmcnt(0)
	v_cmp_eq_u64_e32 vcc, v[7:8], v[9:10]
	v_mov_b32_e32 v10, v8
	s_or_b64 s[46:47], vcc, s[46:47]
	v_mov_b32_e32 v9, v7
	s_andn2_b64 exec, exec, s[46:47]
	s_cbranch_execnz .LBB2_994
.LBB2_995:                              ;   in Loop: Header=BB2_927 Depth=2
	s_or_b64 exec, exec, s[44:45]
	global_load_dwordx2 v[3:4], v2, s[34:35] offset:16
	s_mov_b64 s[46:47], exec
	v_mbcnt_lo_u32_b32 v1, s46, 0
	v_mbcnt_hi_u32_b32 v1, s47, v1
	v_cmp_eq_u32_e32 vcc, 0, v1
	s_and_saveexec_b64 s[44:45], vcc
	s_cbranch_execz .LBB2_997
; %bb.996:                              ;   in Loop: Header=BB2_927 Depth=2
	s_bcnt1_i32_b64 s29, s[46:47]
	v_mov_b32_e32 v1, s29
	s_waitcnt vmcnt(0)
	global_atomic_add_x2 v[3:4], v[1:2], off offset:8
.LBB2_997:                              ;   in Loop: Header=BB2_927 Depth=2
	s_or_b64 exec, exec, s[44:45]
	s_waitcnt vmcnt(0)
	global_load_dwordx2 v[7:8], v[3:4], off offset:16
	s_waitcnt vmcnt(0)
	v_cmp_eq_u64_e32 vcc, 0, v[7:8]
	s_cbranch_vccnz .LBB2_999
; %bb.998:                              ;   in Loop: Header=BB2_927 Depth=2
	global_load_dword v1, v[3:4], off offset:24
	s_waitcnt vmcnt(0)
	v_readfirstlane_b32 s29, v1
	s_and_b32 m0, s29, 0xffffff
	global_store_dwordx2 v[7:8], v[1:2], off
	s_sendmsg sendmsg(MSG_INTERRUPT)
.LBB2_999:                              ;   in Loop: Header=BB2_927 Depth=2
	s_or_b64 exec, exec, s[42:43]
	v_add_co_u32_e32 v3, vcc, v27, v37
	v_addc_co_u32_e32 v4, vcc, 0, v28, vcc
	s_branch .LBB2_1003
.LBB2_1000:                             ;   in Loop: Header=BB2_1003 Depth=3
	s_or_b64 exec, exec, s[42:43]
	v_readfirstlane_b32 s29, v1
	s_cmp_eq_u32 s29, 0
	s_cbranch_scc1 .LBB2_1002
; %bb.1001:                             ;   in Loop: Header=BB2_1003 Depth=3
	s_sleep 1
	s_cbranch_execnz .LBB2_1003
	s_branch .LBB2_1005
.LBB2_1002:                             ;   in Loop: Header=BB2_927 Depth=2
	s_branch .LBB2_1005
.LBB2_1003:                             ;   Parent Loop BB2_448 Depth=1
                                        ;     Parent Loop BB2_927 Depth=2
                                        ; =>    This Inner Loop Header: Depth=3
	v_mov_b32_e32 v1, 1
	s_and_saveexec_b64 s[42:43], s[4:5]
	s_cbranch_execz .LBB2_1000
; %bb.1004:                             ;   in Loop: Header=BB2_1003 Depth=3
	global_load_dword v1, v[29:30], off offset:20 glc
	s_waitcnt vmcnt(0)
	buffer_wbinvl1_vol
	v_and_b32_e32 v1, 1, v1
	s_branch .LBB2_1000
.LBB2_1005:                             ;   in Loop: Header=BB2_927 Depth=2
	global_load_dwordx2 v[7:8], v[3:4], off
	s_and_saveexec_b64 s[42:43], s[4:5]
	s_cbranch_execz .LBB2_926
; %bb.1006:                             ;   in Loop: Header=BB2_927 Depth=2
	global_load_dwordx2 v[3:4], v2, s[34:35] offset:40
	global_load_dwordx2 v[17:18], v2, s[34:35] offset:24 glc
	global_load_dwordx2 v[9:10], v2, s[34:35]
	s_waitcnt vmcnt(2)
	v_readfirstlane_b32 s44, v3
	v_readfirstlane_b32 s45, v4
	s_add_u32 s29, s44, 1
	s_addc_u32 s46, s45, 0
	s_add_u32 s4, s29, s40
	s_addc_u32 s5, s46, s41
	s_cmp_eq_u64 s[4:5], 0
	s_cselect_b32 s5, s46, s5
	s_cselect_b32 s4, s29, s4
	s_and_b64 s[40:41], s[4:5], s[44:45]
	s_mul_i32 s29, s41, 24
	s_mul_hi_u32 s41, s40, 24
	s_mul_i32 s40, s40, 24
	s_add_i32 s29, s41, s29
	v_mov_b32_e32 v1, s29
	s_waitcnt vmcnt(0)
	v_add_co_u32_e32 v3, vcc, s40, v9
	v_addc_co_u32_e32 v4, vcc, v10, v1, vcc
	v_mov_b32_e32 v15, s4
	global_store_dwordx2 v[3:4], v[17:18], off
	v_mov_b32_e32 v16, s5
	s_waitcnt vmcnt(0)
	global_atomic_cmpswap_x2 v[15:16], v2, v[15:18], s[34:35] offset:24 glc
	s_waitcnt vmcnt(0)
	v_cmp_ne_u64_e32 vcc, v[15:16], v[17:18]
	s_and_b64 exec, exec, vcc
	s_cbranch_execz .LBB2_926
; %bb.1007:                             ;   in Loop: Header=BB2_927 Depth=2
	s_mov_b64 s[40:41], 0
.LBB2_1008:                             ;   Parent Loop BB2_448 Depth=1
                                        ;     Parent Loop BB2_927 Depth=2
                                        ; =>    This Inner Loop Header: Depth=3
	s_sleep 1
	global_store_dwordx2 v[3:4], v[15:16], off
	v_mov_b32_e32 v13, s4
	v_mov_b32_e32 v14, s5
	s_waitcnt vmcnt(0)
	global_atomic_cmpswap_x2 v[9:10], v2, v[13:16], s[34:35] offset:24 glc
	s_waitcnt vmcnt(0)
	v_cmp_eq_u64_e32 vcc, v[9:10], v[15:16]
	v_mov_b32_e32 v16, v10
	s_or_b64 s[40:41], vcc, s[40:41]
	v_mov_b32_e32 v15, v9
	s_andn2_b64 exec, exec, s[40:41]
	s_cbranch_execnz .LBB2_1008
	s_branch .LBB2_926
.LBB2_1009:                             ;   in Loop: Header=BB2_448 Depth=1
	s_branch .LBB2_1038
.LBB2_1010:                             ;   in Loop: Header=BB2_448 Depth=1
                                        ; implicit-def: $vgpr7_vgpr8
	s_cbranch_execz .LBB2_1038
; %bb.1011:                             ;   in Loop: Header=BB2_448 Depth=1
	v_readfirstlane_b32 s4, v38
	v_mov_b32_e32 v3, 0
	v_mov_b32_e32 v4, 0
	v_cmp_eq_u32_e64 s[4:5], s4, v38
	s_and_saveexec_b64 s[24:25], s[4:5]
	s_cbranch_execz .LBB2_1017
; %bb.1012:                             ;   in Loop: Header=BB2_448 Depth=1
	global_load_dwordx2 v[9:10], v2, s[34:35] offset:24 glc
	s_waitcnt vmcnt(0)
	buffer_wbinvl1_vol
	global_load_dwordx2 v[3:4], v2, s[34:35] offset:40
	global_load_dwordx2 v[7:8], v2, s[34:35]
	s_waitcnt vmcnt(1)
	v_and_b32_e32 v1, v3, v9
	v_and_b32_e32 v3, v4, v10
	v_mul_lo_u32 v3, v3, 24
	v_mul_hi_u32 v4, v1, 24
	v_mul_lo_u32 v1, v1, 24
	v_add_u32_e32 v4, v4, v3
	s_waitcnt vmcnt(0)
	v_add_co_u32_e32 v3, vcc, v7, v1
	v_addc_co_u32_e32 v4, vcc, v8, v4, vcc
	global_load_dwordx2 v[7:8], v[3:4], off glc
	s_waitcnt vmcnt(0)
	global_atomic_cmpswap_x2 v[3:4], v2, v[7:10], s[34:35] offset:24 glc
	s_waitcnt vmcnt(0)
	buffer_wbinvl1_vol
	v_cmp_ne_u64_e32 vcc, v[3:4], v[9:10]
	s_and_saveexec_b64 s[36:37], vcc
	s_cbranch_execz .LBB2_1016
; %bb.1013:                             ;   in Loop: Header=BB2_448 Depth=1
	s_mov_b64 s[38:39], 0
.LBB2_1014:                             ;   Parent Loop BB2_448 Depth=1
                                        ; =>  This Inner Loop Header: Depth=2
	s_sleep 1
	global_load_dwordx2 v[7:8], v2, s[34:35] offset:40
	global_load_dwordx2 v[13:14], v2, s[34:35]
	v_mov_b32_e32 v10, v4
	v_mov_b32_e32 v9, v3
	s_waitcnt vmcnt(1)
	v_and_b32_e32 v1, v7, v9
	s_waitcnt vmcnt(0)
	v_mad_u64_u32 v[3:4], s[40:41], v1, 24, v[13:14]
	v_and_b32_e32 v7, v8, v10
	v_mov_b32_e32 v1, v4
	v_mad_u64_u32 v[7:8], s[40:41], v7, 24, v[1:2]
	v_mov_b32_e32 v4, v7
	global_load_dwordx2 v[7:8], v[3:4], off glc
	s_waitcnt vmcnt(0)
	global_atomic_cmpswap_x2 v[3:4], v2, v[7:10], s[34:35] offset:24 glc
	s_waitcnt vmcnt(0)
	buffer_wbinvl1_vol
	v_cmp_eq_u64_e32 vcc, v[3:4], v[9:10]
	s_or_b64 s[38:39], vcc, s[38:39]
	s_andn2_b64 exec, exec, s[38:39]
	s_cbranch_execnz .LBB2_1014
; %bb.1015:                             ;   in Loop: Header=BB2_448 Depth=1
	s_or_b64 exec, exec, s[38:39]
.LBB2_1016:                             ;   in Loop: Header=BB2_448 Depth=1
	s_or_b64 exec, exec, s[36:37]
.LBB2_1017:                             ;   in Loop: Header=BB2_448 Depth=1
	s_or_b64 exec, exec, s[24:25]
	global_load_dwordx2 v[13:14], v2, s[34:35] offset:40
	global_load_dwordx4 v[7:10], v2, s[34:35]
	v_readfirstlane_b32 s25, v4
	v_readfirstlane_b32 s24, v3
	s_mov_b64 s[36:37], exec
	s_waitcnt vmcnt(1)
	v_readfirstlane_b32 s38, v13
	v_readfirstlane_b32 s39, v14
	s_and_b64 s[38:39], s[38:39], s[24:25]
	s_mul_i32 s29, s39, 24
	s_mul_hi_u32 s40, s38, 24
	s_mul_i32 s41, s38, 24
	s_add_i32 s29, s40, s29
	v_mov_b32_e32 v1, s29
	s_waitcnt vmcnt(0)
	v_add_co_u32_e32 v15, vcc, s41, v7
	v_addc_co_u32_e32 v16, vcc, v8, v1, vcc
	s_and_saveexec_b64 s[40:41], s[4:5]
	s_cbranch_execz .LBB2_1019
; %bb.1018:                             ;   in Loop: Header=BB2_448 Depth=1
	v_mov_b32_e32 v3, s36
	v_mov_b32_e32 v4, s37
	global_store_dwordx4 v[15:16], v[3:6], off offset:8
.LBB2_1019:                             ;   in Loop: Header=BB2_448 Depth=1
	s_or_b64 exec, exec, s[40:41]
	s_lshl_b64 s[36:37], s[38:39], 12
	v_mov_b32_e32 v1, s37
	v_add_co_u32_e32 v17, vcc, s36, v9
	v_addc_co_u32_e32 v18, vcc, v10, v1, vcc
	v_and_or_b32 v11, v11, s33, 32
	v_mov_b32_e32 v13, v2
	v_mov_b32_e32 v14, v2
	v_readfirstlane_b32 s36, v17
	v_readfirstlane_b32 s37, v18
	s_nop 4
	global_store_dwordx4 v37, v[11:14], s[36:37]
	v_mov_b32_e32 v9, s12
	v_mov_b32_e32 v10, s13
	;; [unrolled: 1-line block ×4, first 2 shown]
	global_store_dwordx4 v37, v[9:12], s[36:37] offset:16
	global_store_dwordx4 v37, v[9:12], s[36:37] offset:32
	;; [unrolled: 1-line block ×3, first 2 shown]
	s_and_saveexec_b64 s[36:37], s[4:5]
	s_cbranch_execz .LBB2_1027
; %bb.1020:                             ;   in Loop: Header=BB2_448 Depth=1
	global_load_dwordx2 v[11:12], v2, s[34:35] offset:32 glc
	global_load_dwordx2 v[3:4], v2, s[34:35] offset:40
	v_mov_b32_e32 v9, s24
	v_mov_b32_e32 v10, s25
	s_waitcnt vmcnt(0)
	v_readfirstlane_b32 s38, v3
	v_readfirstlane_b32 s39, v4
	s_and_b64 s[38:39], s[38:39], s[24:25]
	s_mul_i32 s29, s39, 24
	s_mul_hi_u32 s39, s38, 24
	s_mul_i32 s38, s38, 24
	s_add_i32 s29, s39, s29
	v_mov_b32_e32 v1, s29
	v_add_co_u32_e32 v3, vcc, s38, v7
	v_addc_co_u32_e32 v4, vcc, v8, v1, vcc
	global_store_dwordx2 v[3:4], v[11:12], off
	s_waitcnt vmcnt(0)
	global_atomic_cmpswap_x2 v[9:10], v2, v[9:12], s[34:35] offset:32 glc
	s_waitcnt vmcnt(0)
	v_cmp_ne_u64_e32 vcc, v[9:10], v[11:12]
	s_and_saveexec_b64 s[38:39], vcc
	s_cbranch_execz .LBB2_1023
; %bb.1021:                             ;   in Loop: Header=BB2_448 Depth=1
	s_mov_b64 s[40:41], 0
.LBB2_1022:                             ;   Parent Loop BB2_448 Depth=1
                                        ; =>  This Inner Loop Header: Depth=2
	s_sleep 1
	global_store_dwordx2 v[3:4], v[9:10], off
	v_mov_b32_e32 v7, s24
	v_mov_b32_e32 v8, s25
	s_waitcnt vmcnt(0)
	global_atomic_cmpswap_x2 v[7:8], v2, v[7:10], s[34:35] offset:32 glc
	s_waitcnt vmcnt(0)
	v_cmp_eq_u64_e32 vcc, v[7:8], v[9:10]
	v_mov_b32_e32 v10, v8
	s_or_b64 s[40:41], vcc, s[40:41]
	v_mov_b32_e32 v9, v7
	s_andn2_b64 exec, exec, s[40:41]
	s_cbranch_execnz .LBB2_1022
.LBB2_1023:                             ;   in Loop: Header=BB2_448 Depth=1
	s_or_b64 exec, exec, s[38:39]
	global_load_dwordx2 v[3:4], v2, s[34:35] offset:16
	s_mov_b64 s[40:41], exec
	v_mbcnt_lo_u32_b32 v1, s40, 0
	v_mbcnt_hi_u32_b32 v1, s41, v1
	v_cmp_eq_u32_e32 vcc, 0, v1
	s_and_saveexec_b64 s[38:39], vcc
	s_cbranch_execz .LBB2_1025
; %bb.1024:                             ;   in Loop: Header=BB2_448 Depth=1
	s_bcnt1_i32_b64 s29, s[40:41]
	v_mov_b32_e32 v1, s29
	s_waitcnt vmcnt(0)
	global_atomic_add_x2 v[3:4], v[1:2], off offset:8
.LBB2_1025:                             ;   in Loop: Header=BB2_448 Depth=1
	s_or_b64 exec, exec, s[38:39]
	s_waitcnt vmcnt(0)
	global_load_dwordx2 v[7:8], v[3:4], off offset:16
	s_waitcnt vmcnt(0)
	v_cmp_eq_u64_e32 vcc, 0, v[7:8]
	s_cbranch_vccnz .LBB2_1027
; %bb.1026:                             ;   in Loop: Header=BB2_448 Depth=1
	global_load_dword v1, v[3:4], off offset:24
	s_waitcnt vmcnt(0)
	v_readfirstlane_b32 s29, v1
	s_and_b32 m0, s29, 0xffffff
	global_store_dwordx2 v[7:8], v[1:2], off
	s_sendmsg sendmsg(MSG_INTERRUPT)
.LBB2_1027:                             ;   in Loop: Header=BB2_448 Depth=1
	s_or_b64 exec, exec, s[36:37]
	v_add_co_u32_e32 v3, vcc, v17, v37
	v_addc_co_u32_e32 v4, vcc, 0, v18, vcc
	s_branch .LBB2_1031
.LBB2_1028:                             ;   in Loop: Header=BB2_1031 Depth=2
	s_or_b64 exec, exec, s[36:37]
	v_readfirstlane_b32 s29, v1
	s_cmp_eq_u32 s29, 0
	s_cbranch_scc1 .LBB2_1030
; %bb.1029:                             ;   in Loop: Header=BB2_1031 Depth=2
	s_sleep 1
	s_cbranch_execnz .LBB2_1031
	s_branch .LBB2_1033
.LBB2_1030:                             ;   in Loop: Header=BB2_448 Depth=1
	s_branch .LBB2_1033
.LBB2_1031:                             ;   Parent Loop BB2_448 Depth=1
                                        ; =>  This Inner Loop Header: Depth=2
	v_mov_b32_e32 v1, 1
	s_and_saveexec_b64 s[36:37], s[4:5]
	s_cbranch_execz .LBB2_1028
; %bb.1032:                             ;   in Loop: Header=BB2_1031 Depth=2
	global_load_dword v1, v[15:16], off offset:20 glc
	s_waitcnt vmcnt(0)
	buffer_wbinvl1_vol
	v_and_b32_e32 v1, 1, v1
	s_branch .LBB2_1028
.LBB2_1033:                             ;   in Loop: Header=BB2_448 Depth=1
	global_load_dwordx2 v[7:8], v[3:4], off
	s_and_saveexec_b64 s[36:37], s[4:5]
	s_cbranch_execz .LBB2_1037
; %bb.1034:                             ;   in Loop: Header=BB2_448 Depth=1
	global_load_dwordx2 v[3:4], v2, s[34:35] offset:40
	global_load_dwordx2 v[13:14], v2, s[34:35] offset:24 glc
	global_load_dwordx2 v[9:10], v2, s[34:35]
	s_waitcnt vmcnt(2)
	v_readfirstlane_b32 s38, v3
	v_readfirstlane_b32 s39, v4
	s_add_u32 s29, s38, 1
	s_addc_u32 s40, s39, 0
	s_add_u32 s4, s29, s24
	s_addc_u32 s5, s40, s25
	s_cmp_eq_u64 s[4:5], 0
	s_cselect_b32 s5, s40, s5
	s_cselect_b32 s4, s29, s4
	s_and_b64 s[24:25], s[4:5], s[38:39]
	s_mul_i32 s25, s25, 24
	s_mul_hi_u32 s29, s24, 24
	s_mul_i32 s24, s24, 24
	s_add_i32 s25, s29, s25
	v_mov_b32_e32 v1, s25
	s_waitcnt vmcnt(0)
	v_add_co_u32_e32 v3, vcc, s24, v9
	v_addc_co_u32_e32 v4, vcc, v10, v1, vcc
	v_mov_b32_e32 v11, s4
	global_store_dwordx2 v[3:4], v[13:14], off
	v_mov_b32_e32 v12, s5
	s_waitcnt vmcnt(0)
	global_atomic_cmpswap_x2 v[11:12], v2, v[11:14], s[34:35] offset:24 glc
	s_waitcnt vmcnt(0)
	v_cmp_ne_u64_e32 vcc, v[11:12], v[13:14]
	s_and_b64 exec, exec, vcc
	s_cbranch_execz .LBB2_1037
; %bb.1035:                             ;   in Loop: Header=BB2_448 Depth=1
	s_mov_b64 s[24:25], 0
.LBB2_1036:                             ;   Parent Loop BB2_448 Depth=1
                                        ; =>  This Inner Loop Header: Depth=2
	s_sleep 1
	global_store_dwordx2 v[3:4], v[11:12], off
	v_mov_b32_e32 v9, s4
	v_mov_b32_e32 v10, s5
	s_waitcnt vmcnt(0)
	global_atomic_cmpswap_x2 v[9:10], v2, v[9:12], s[34:35] offset:24 glc
	s_waitcnt vmcnt(0)
	v_cmp_eq_u64_e32 vcc, v[9:10], v[11:12]
	v_mov_b32_e32 v12, v10
	s_or_b64 s[24:25], vcc, s[24:25]
	v_mov_b32_e32 v11, v9
	s_andn2_b64 exec, exec, s[24:25]
	s_cbranch_execnz .LBB2_1036
.LBB2_1037:                             ;   in Loop: Header=BB2_448 Depth=1
	s_or_b64 exec, exec, s[36:37]
.LBB2_1038:                             ;   in Loop: Header=BB2_448 Depth=1
	s_and_b32 s29, s23, 1
	s_getpc_b64 s[4:5]
	s_add_u32 s4, s4, .str.4@rel32@lo+4
	s_addc_u32 s5, s5, .str.4@rel32@hi+12
	s_getpc_b64 s[24:25]
	s_add_u32 s24, s24, .str.3@rel32@lo+4
	s_addc_u32 s25, s25, .str.3@rel32@hi+12
	s_cmp_eq_u32 s29, 0
	s_cselect_b32 s25, s5, s25
	s_cselect_b32 s24, s4, s24
	s_cmp_lg_u64 s[24:25], 0
	s_cselect_b64 s[4:5], -1, 0
	s_cmp_eq_u64 s[24:25], 0
	s_mov_b64 s[36:37], 0
	s_cbranch_scc1 .LBB2_1042
; %bb.1039:                             ;   in Loop: Header=BB2_448 Depth=1
	s_add_u32 s36, s24, -1
	s_addc_u32 s37, s25, -1
.LBB2_1040:                             ;   Parent Loop BB2_448 Depth=1
                                        ; =>  This Inner Loop Header: Depth=2
	global_load_ubyte v1, v2, s[36:37] offset:1
	s_add_u32 s38, s36, 1
	s_addc_u32 s39, s37, 0
	s_mov_b64 s[36:37], s[38:39]
	s_waitcnt vmcnt(0)
	v_cmp_ne_u32_e32 vcc, 0, v1
	s_cbranch_vccnz .LBB2_1040
; %bb.1041:                             ;   in Loop: Header=BB2_448 Depth=1
	s_sub_u32 s29, s38, s24
	s_subb_u32 s37, s39, s25
	s_add_u32 s36, s29, 1
	s_addc_u32 s37, s37, 0
.LBB2_1042:                             ;   in Loop: Header=BB2_448 Depth=1
	s_and_b64 vcc, exec, s[4:5]
	s_cbranch_vccz .LBB2_1128
; %bb.1043:                             ;   in Loop: Header=BB2_448 Depth=1
	s_waitcnt vmcnt(0)
	v_and_b32_e32 v9, -3, v7
	v_mov_b32_e32 v10, v8
	s_branch .LBB2_1045
.LBB2_1044:                             ;   in Loop: Header=BB2_1045 Depth=2
	s_or_b64 exec, exec, s[42:43]
	s_sub_u32 s36, s36, s38
	s_subb_u32 s37, s37, s39
	s_add_u32 s24, s24, s38
	s_addc_u32 s25, s25, s39
	s_cmp_lg_u64 s[36:37], 0
	s_cbranch_scc0 .LBB2_1127
.LBB2_1045:                             ;   Parent Loop BB2_448 Depth=1
                                        ; =>  This Loop Header: Depth=2
                                        ;       Child Loop BB2_1048 Depth 3
                                        ;       Child Loop BB2_1056 Depth 3
	;; [unrolled: 1-line block ×11, first 2 shown]
	v_cmp_lt_u64_e64 s[4:5], s[36:37], 56
	v_cmp_gt_u64_e64 s[40:41], s[36:37], 7
	s_and_b64 s[4:5], s[4:5], exec
	s_cselect_b32 s39, s37, 0
	s_cselect_b32 s38, s36, 56
	s_add_u32 s4, s24, 8
	s_addc_u32 s5, s25, 0
	s_and_b64 vcc, exec, s[40:41]
	s_cbranch_vccnz .LBB2_1049
; %bb.1046:                             ;   in Loop: Header=BB2_1045 Depth=2
	s_cmp_eq_u64 s[36:37], 0
	s_cbranch_scc1 .LBB2_1050
; %bb.1047:                             ;   in Loop: Header=BB2_1045 Depth=2
	v_mov_b32_e32 v11, 0
	s_lshl_b64 s[4:5], s[38:39], 3
	s_mov_b64 s[40:41], 0
	v_mov_b32_e32 v12, 0
	s_mov_b64 s[42:43], s[24:25]
.LBB2_1048:                             ;   Parent Loop BB2_448 Depth=1
                                        ;     Parent Loop BB2_1045 Depth=2
                                        ; =>    This Inner Loop Header: Depth=3
	global_load_ubyte v1, v2, s[42:43]
	s_waitcnt vmcnt(0)
	v_and_b32_e32 v1, 0xffff, v1
	v_lshlrev_b64 v[3:4], s40, v[1:2]
	s_add_u32 s40, s40, 8
	s_addc_u32 s41, s41, 0
	s_add_u32 s42, s42, 1
	s_addc_u32 s43, s43, 0
	v_or_b32_e32 v11, v3, v11
	s_cmp_lg_u32 s4, s40
	v_or_b32_e32 v12, v4, v12
	s_cbranch_scc1 .LBB2_1048
	s_branch .LBB2_1051
.LBB2_1049:                             ;   in Loop: Header=BB2_1045 Depth=2
	s_mov_b32 s29, 0
	s_branch .LBB2_1052
.LBB2_1050:                             ;   in Loop: Header=BB2_1045 Depth=2
	v_mov_b32_e32 v11, 0
	v_mov_b32_e32 v12, 0
.LBB2_1051:                             ;   in Loop: Header=BB2_1045 Depth=2
	s_mov_b64 s[4:5], s[24:25]
	s_mov_b32 s29, 0
	s_cbranch_execnz .LBB2_1053
.LBB2_1052:                             ;   in Loop: Header=BB2_1045 Depth=2
	global_load_dwordx2 v[11:12], v2, s[24:25]
	s_add_i32 s29, s38, -8
.LBB2_1053:                             ;   in Loop: Header=BB2_1045 Depth=2
	s_add_u32 s40, s4, 8
	s_addc_u32 s41, s5, 0
	s_cmp_gt_u32 s29, 7
	s_cbranch_scc1 .LBB2_1057
; %bb.1054:                             ;   in Loop: Header=BB2_1045 Depth=2
	s_cmp_eq_u32 s29, 0
	s_cbranch_scc1 .LBB2_1058
; %bb.1055:                             ;   in Loop: Header=BB2_1045 Depth=2
	v_mov_b32_e32 v13, 0
	s_mov_b64 s[40:41], 0
	v_mov_b32_e32 v14, 0
	s_mov_b64 s[42:43], 0
.LBB2_1056:                             ;   Parent Loop BB2_448 Depth=1
                                        ;     Parent Loop BB2_1045 Depth=2
                                        ; =>    This Inner Loop Header: Depth=3
	s_add_u32 s44, s4, s42
	s_addc_u32 s45, s5, s43
	global_load_ubyte v1, v2, s[44:45]
	s_add_u32 s42, s42, 1
	s_addc_u32 s43, s43, 0
	s_waitcnt vmcnt(0)
	v_and_b32_e32 v1, 0xffff, v1
	v_lshlrev_b64 v[3:4], s40, v[1:2]
	s_add_u32 s40, s40, 8
	s_addc_u32 s41, s41, 0
	v_or_b32_e32 v13, v3, v13
	s_cmp_lg_u32 s29, s42
	v_or_b32_e32 v14, v4, v14
	s_cbranch_scc1 .LBB2_1056
	s_branch .LBB2_1059
.LBB2_1057:                             ;   in Loop: Header=BB2_1045 Depth=2
                                        ; implicit-def: $vgpr13_vgpr14
	s_mov_b32 s44, 0
	s_branch .LBB2_1060
.LBB2_1058:                             ;   in Loop: Header=BB2_1045 Depth=2
	v_mov_b32_e32 v13, 0
	v_mov_b32_e32 v14, 0
.LBB2_1059:                             ;   in Loop: Header=BB2_1045 Depth=2
	s_mov_b64 s[40:41], s[4:5]
	s_mov_b32 s44, 0
	s_cbranch_execnz .LBB2_1061
.LBB2_1060:                             ;   in Loop: Header=BB2_1045 Depth=2
	global_load_dwordx2 v[13:14], v2, s[4:5]
	s_add_i32 s44, s29, -8
.LBB2_1061:                             ;   in Loop: Header=BB2_1045 Depth=2
	s_add_u32 s4, s40, 8
	s_addc_u32 s5, s41, 0
	s_cmp_gt_u32 s44, 7
	s_cbranch_scc1 .LBB2_1065
; %bb.1062:                             ;   in Loop: Header=BB2_1045 Depth=2
	s_cmp_eq_u32 s44, 0
	s_cbranch_scc1 .LBB2_1066
; %bb.1063:                             ;   in Loop: Header=BB2_1045 Depth=2
	v_mov_b32_e32 v15, 0
	s_mov_b64 s[4:5], 0
	v_mov_b32_e32 v16, 0
	s_mov_b64 s[42:43], 0
.LBB2_1064:                             ;   Parent Loop BB2_448 Depth=1
                                        ;     Parent Loop BB2_1045 Depth=2
                                        ; =>    This Inner Loop Header: Depth=3
	s_add_u32 s46, s40, s42
	s_addc_u32 s47, s41, s43
	global_load_ubyte v1, v2, s[46:47]
	s_add_u32 s42, s42, 1
	s_addc_u32 s43, s43, 0
	s_waitcnt vmcnt(0)
	v_and_b32_e32 v1, 0xffff, v1
	v_lshlrev_b64 v[3:4], s4, v[1:2]
	s_add_u32 s4, s4, 8
	s_addc_u32 s5, s5, 0
	v_or_b32_e32 v15, v3, v15
	s_cmp_lg_u32 s44, s42
	v_or_b32_e32 v16, v4, v16
	s_cbranch_scc1 .LBB2_1064
	s_branch .LBB2_1067
.LBB2_1065:                             ;   in Loop: Header=BB2_1045 Depth=2
	s_mov_b32 s29, 0
	s_branch .LBB2_1068
.LBB2_1066:                             ;   in Loop: Header=BB2_1045 Depth=2
	v_mov_b32_e32 v15, 0
	v_mov_b32_e32 v16, 0
.LBB2_1067:                             ;   in Loop: Header=BB2_1045 Depth=2
	s_mov_b64 s[4:5], s[40:41]
	s_mov_b32 s29, 0
	s_cbranch_execnz .LBB2_1069
.LBB2_1068:                             ;   in Loop: Header=BB2_1045 Depth=2
	global_load_dwordx2 v[15:16], v2, s[40:41]
	s_add_i32 s29, s44, -8
.LBB2_1069:                             ;   in Loop: Header=BB2_1045 Depth=2
	s_add_u32 s40, s4, 8
	s_addc_u32 s41, s5, 0
	s_cmp_gt_u32 s29, 7
	s_cbranch_scc1 .LBB2_1073
; %bb.1070:                             ;   in Loop: Header=BB2_1045 Depth=2
	s_cmp_eq_u32 s29, 0
	s_cbranch_scc1 .LBB2_1074
; %bb.1071:                             ;   in Loop: Header=BB2_1045 Depth=2
	v_mov_b32_e32 v17, 0
	s_mov_b64 s[40:41], 0
	v_mov_b32_e32 v18, 0
	s_mov_b64 s[42:43], 0
.LBB2_1072:                             ;   Parent Loop BB2_448 Depth=1
                                        ;     Parent Loop BB2_1045 Depth=2
                                        ; =>    This Inner Loop Header: Depth=3
	s_add_u32 s44, s4, s42
	s_addc_u32 s45, s5, s43
	global_load_ubyte v1, v2, s[44:45]
	s_add_u32 s42, s42, 1
	s_addc_u32 s43, s43, 0
	s_waitcnt vmcnt(0)
	v_and_b32_e32 v1, 0xffff, v1
	v_lshlrev_b64 v[3:4], s40, v[1:2]
	s_add_u32 s40, s40, 8
	s_addc_u32 s41, s41, 0
	v_or_b32_e32 v17, v3, v17
	s_cmp_lg_u32 s29, s42
	v_or_b32_e32 v18, v4, v18
	s_cbranch_scc1 .LBB2_1072
	s_branch .LBB2_1075
.LBB2_1073:                             ;   in Loop: Header=BB2_1045 Depth=2
                                        ; implicit-def: $vgpr17_vgpr18
	s_mov_b32 s44, 0
	s_branch .LBB2_1076
.LBB2_1074:                             ;   in Loop: Header=BB2_1045 Depth=2
	v_mov_b32_e32 v17, 0
	v_mov_b32_e32 v18, 0
.LBB2_1075:                             ;   in Loop: Header=BB2_1045 Depth=2
	s_mov_b64 s[40:41], s[4:5]
	s_mov_b32 s44, 0
	s_cbranch_execnz .LBB2_1077
.LBB2_1076:                             ;   in Loop: Header=BB2_1045 Depth=2
	global_load_dwordx2 v[17:18], v2, s[4:5]
	s_add_i32 s44, s29, -8
.LBB2_1077:                             ;   in Loop: Header=BB2_1045 Depth=2
	s_add_u32 s4, s40, 8
	s_addc_u32 s5, s41, 0
	s_cmp_gt_u32 s44, 7
	s_cbranch_scc1 .LBB2_1081
; %bb.1078:                             ;   in Loop: Header=BB2_1045 Depth=2
	s_cmp_eq_u32 s44, 0
	s_cbranch_scc1 .LBB2_1082
; %bb.1079:                             ;   in Loop: Header=BB2_1045 Depth=2
	v_mov_b32_e32 v19, 0
	s_mov_b64 s[4:5], 0
	v_mov_b32_e32 v20, 0
	s_mov_b64 s[42:43], 0
.LBB2_1080:                             ;   Parent Loop BB2_448 Depth=1
                                        ;     Parent Loop BB2_1045 Depth=2
                                        ; =>    This Inner Loop Header: Depth=3
	s_add_u32 s46, s40, s42
	s_addc_u32 s47, s41, s43
	global_load_ubyte v1, v2, s[46:47]
	s_add_u32 s42, s42, 1
	s_addc_u32 s43, s43, 0
	s_waitcnt vmcnt(0)
	v_and_b32_e32 v1, 0xffff, v1
	v_lshlrev_b64 v[3:4], s4, v[1:2]
	s_add_u32 s4, s4, 8
	s_addc_u32 s5, s5, 0
	v_or_b32_e32 v19, v3, v19
	s_cmp_lg_u32 s44, s42
	v_or_b32_e32 v20, v4, v20
	s_cbranch_scc1 .LBB2_1080
	s_branch .LBB2_1083
.LBB2_1081:                             ;   in Loop: Header=BB2_1045 Depth=2
	s_mov_b32 s29, 0
	s_branch .LBB2_1084
.LBB2_1082:                             ;   in Loop: Header=BB2_1045 Depth=2
	v_mov_b32_e32 v19, 0
	v_mov_b32_e32 v20, 0
.LBB2_1083:                             ;   in Loop: Header=BB2_1045 Depth=2
	s_mov_b64 s[4:5], s[40:41]
	s_mov_b32 s29, 0
	s_cbranch_execnz .LBB2_1085
.LBB2_1084:                             ;   in Loop: Header=BB2_1045 Depth=2
	global_load_dwordx2 v[19:20], v2, s[40:41]
	s_add_i32 s29, s44, -8
.LBB2_1085:                             ;   in Loop: Header=BB2_1045 Depth=2
	s_add_u32 s40, s4, 8
	s_addc_u32 s41, s5, 0
	s_cmp_gt_u32 s29, 7
	s_cbranch_scc1 .LBB2_1089
; %bb.1086:                             ;   in Loop: Header=BB2_1045 Depth=2
	s_cmp_eq_u32 s29, 0
	s_cbranch_scc1 .LBB2_1090
; %bb.1087:                             ;   in Loop: Header=BB2_1045 Depth=2
	v_mov_b32_e32 v21, 0
	s_mov_b64 s[40:41], 0
	v_mov_b32_e32 v22, 0
	s_mov_b64 s[42:43], 0
.LBB2_1088:                             ;   Parent Loop BB2_448 Depth=1
                                        ;     Parent Loop BB2_1045 Depth=2
                                        ; =>    This Inner Loop Header: Depth=3
	s_add_u32 s44, s4, s42
	s_addc_u32 s45, s5, s43
	global_load_ubyte v1, v2, s[44:45]
	s_add_u32 s42, s42, 1
	s_addc_u32 s43, s43, 0
	s_waitcnt vmcnt(0)
	v_and_b32_e32 v1, 0xffff, v1
	v_lshlrev_b64 v[3:4], s40, v[1:2]
	s_add_u32 s40, s40, 8
	s_addc_u32 s41, s41, 0
	v_or_b32_e32 v21, v3, v21
	s_cmp_lg_u32 s29, s42
	v_or_b32_e32 v22, v4, v22
	s_cbranch_scc1 .LBB2_1088
	s_branch .LBB2_1091
.LBB2_1089:                             ;   in Loop: Header=BB2_1045 Depth=2
                                        ; implicit-def: $vgpr21_vgpr22
	s_mov_b32 s44, 0
	s_branch .LBB2_1092
.LBB2_1090:                             ;   in Loop: Header=BB2_1045 Depth=2
	v_mov_b32_e32 v21, 0
	v_mov_b32_e32 v22, 0
.LBB2_1091:                             ;   in Loop: Header=BB2_1045 Depth=2
	s_mov_b64 s[40:41], s[4:5]
	s_mov_b32 s44, 0
	s_cbranch_execnz .LBB2_1093
.LBB2_1092:                             ;   in Loop: Header=BB2_1045 Depth=2
	global_load_dwordx2 v[21:22], v2, s[4:5]
	s_add_i32 s44, s29, -8
.LBB2_1093:                             ;   in Loop: Header=BB2_1045 Depth=2
	s_cmp_gt_u32 s44, 7
	s_cbranch_scc1 .LBB2_1097
; %bb.1094:                             ;   in Loop: Header=BB2_1045 Depth=2
	s_cmp_eq_u32 s44, 0
	s_cbranch_scc1 .LBB2_1098
; %bb.1095:                             ;   in Loop: Header=BB2_1045 Depth=2
	v_mov_b32_e32 v23, 0
	s_mov_b64 s[4:5], 0
	v_mov_b32_e32 v24, 0
	s_mov_b64 s[42:43], s[40:41]
.LBB2_1096:                             ;   Parent Loop BB2_448 Depth=1
                                        ;     Parent Loop BB2_1045 Depth=2
                                        ; =>    This Inner Loop Header: Depth=3
	global_load_ubyte v1, v2, s[42:43]
	s_add_i32 s44, s44, -1
	s_waitcnt vmcnt(0)
	v_and_b32_e32 v1, 0xffff, v1
	v_lshlrev_b64 v[3:4], s4, v[1:2]
	s_add_u32 s4, s4, 8
	s_addc_u32 s5, s5, 0
	s_add_u32 s42, s42, 1
	s_addc_u32 s43, s43, 0
	v_or_b32_e32 v23, v3, v23
	s_cmp_lg_u32 s44, 0
	v_or_b32_e32 v24, v4, v24
	s_cbranch_scc1 .LBB2_1096
	s_branch .LBB2_1099
.LBB2_1097:                             ;   in Loop: Header=BB2_1045 Depth=2
	s_branch .LBB2_1100
.LBB2_1098:                             ;   in Loop: Header=BB2_1045 Depth=2
	v_mov_b32_e32 v23, 0
	v_mov_b32_e32 v24, 0
.LBB2_1099:                             ;   in Loop: Header=BB2_1045 Depth=2
	s_cbranch_execnz .LBB2_1101
.LBB2_1100:                             ;   in Loop: Header=BB2_1045 Depth=2
	global_load_dwordx2 v[23:24], v2, s[40:41]
.LBB2_1101:                             ;   in Loop: Header=BB2_1045 Depth=2
	v_readfirstlane_b32 s4, v38
	v_mov_b32_e32 v3, 0
	v_mov_b32_e32 v4, 0
	v_cmp_eq_u32_e64 s[4:5], s4, v38
	s_and_saveexec_b64 s[40:41], s[4:5]
	s_cbranch_execz .LBB2_1107
; %bb.1102:                             ;   in Loop: Header=BB2_1045 Depth=2
	global_load_dwordx2 v[27:28], v2, s[34:35] offset:24 glc
	s_waitcnt vmcnt(0)
	buffer_wbinvl1_vol
	global_load_dwordx2 v[3:4], v2, s[34:35] offset:40
	global_load_dwordx2 v[25:26], v2, s[34:35]
	s_waitcnt vmcnt(1)
	v_and_b32_e32 v1, v3, v27
	v_and_b32_e32 v3, v4, v28
	v_mul_lo_u32 v3, v3, 24
	v_mul_hi_u32 v4, v1, 24
	v_mul_lo_u32 v1, v1, 24
	v_add_u32_e32 v4, v4, v3
	s_waitcnt vmcnt(0)
	v_add_co_u32_e32 v3, vcc, v25, v1
	v_addc_co_u32_e32 v4, vcc, v26, v4, vcc
	global_load_dwordx2 v[25:26], v[3:4], off glc
	s_waitcnt vmcnt(0)
	global_atomic_cmpswap_x2 v[3:4], v2, v[25:28], s[34:35] offset:24 glc
	s_waitcnt vmcnt(0)
	buffer_wbinvl1_vol
	v_cmp_ne_u64_e32 vcc, v[3:4], v[27:28]
	s_and_saveexec_b64 s[42:43], vcc
	s_cbranch_execz .LBB2_1106
; %bb.1103:                             ;   in Loop: Header=BB2_1045 Depth=2
	s_mov_b64 s[44:45], 0
.LBB2_1104:                             ;   Parent Loop BB2_448 Depth=1
                                        ;     Parent Loop BB2_1045 Depth=2
                                        ; =>    This Inner Loop Header: Depth=3
	s_sleep 1
	global_load_dwordx2 v[25:26], v2, s[34:35] offset:40
	global_load_dwordx2 v[29:30], v2, s[34:35]
	v_mov_b32_e32 v28, v4
	v_mov_b32_e32 v27, v3
	s_waitcnt vmcnt(1)
	v_and_b32_e32 v1, v25, v27
	s_waitcnt vmcnt(0)
	v_mad_u64_u32 v[3:4], s[46:47], v1, 24, v[29:30]
	v_and_b32_e32 v25, v26, v28
	v_mov_b32_e32 v1, v4
	v_mad_u64_u32 v[25:26], s[46:47], v25, 24, v[1:2]
	v_mov_b32_e32 v4, v25
	global_load_dwordx2 v[25:26], v[3:4], off glc
	s_waitcnt vmcnt(0)
	global_atomic_cmpswap_x2 v[3:4], v2, v[25:28], s[34:35] offset:24 glc
	s_waitcnt vmcnt(0)
	buffer_wbinvl1_vol
	v_cmp_eq_u64_e32 vcc, v[3:4], v[27:28]
	s_or_b64 s[44:45], vcc, s[44:45]
	s_andn2_b64 exec, exec, s[44:45]
	s_cbranch_execnz .LBB2_1104
; %bb.1105:                             ;   in Loop: Header=BB2_1045 Depth=2
	s_or_b64 exec, exec, s[44:45]
.LBB2_1106:                             ;   in Loop: Header=BB2_1045 Depth=2
	s_or_b64 exec, exec, s[42:43]
.LBB2_1107:                             ;   in Loop: Header=BB2_1045 Depth=2
	s_or_b64 exec, exec, s[40:41]
	global_load_dwordx2 v[29:30], v2, s[34:35] offset:40
	global_load_dwordx4 v[25:28], v2, s[34:35]
	v_readfirstlane_b32 s41, v4
	v_readfirstlane_b32 s40, v3
	s_mov_b64 s[42:43], exec
	s_waitcnt vmcnt(1)
	v_readfirstlane_b32 s44, v29
	v_readfirstlane_b32 s45, v30
	s_and_b64 s[44:45], s[44:45], s[40:41]
	s_mul_i32 s29, s45, 24
	s_mul_hi_u32 s46, s44, 24
	s_mul_i32 s47, s44, 24
	s_add_i32 s29, s46, s29
	v_mov_b32_e32 v1, s29
	s_waitcnt vmcnt(0)
	v_add_co_u32_e32 v29, vcc, s47, v25
	v_addc_co_u32_e32 v30, vcc, v26, v1, vcc
	s_and_saveexec_b64 s[46:47], s[4:5]
	s_cbranch_execz .LBB2_1109
; %bb.1108:                             ;   in Loop: Header=BB2_1045 Depth=2
	v_mov_b32_e32 v3, s42
	v_mov_b32_e32 v4, s43
	global_store_dwordx4 v[29:30], v[3:6], off offset:8
.LBB2_1109:                             ;   in Loop: Header=BB2_1045 Depth=2
	s_or_b64 exec, exec, s[46:47]
	s_lshl_b64 s[42:43], s[44:45], 12
	v_mov_b32_e32 v1, s43
	v_add_co_u32_e32 v27, vcc, s42, v27
	v_addc_co_u32_e32 v28, vcc, v28, v1, vcc
	v_cmp_lt_u64_e64 vcc, s[36:37], 57
	v_and_b32_e32 v1, 2, v7
	s_lshl_b32 s29, s38, 2
	v_cndmask_b32_e32 v1, 0, v1, vcc
	s_add_i32 s29, s29, 28
	v_and_b32_e32 v3, 0xffffff1f, v9
	s_and_b32 s29, s29, 0x1e0
	v_or_b32_e32 v1, v3, v1
	v_or_b32_e32 v9, s29, v1
	v_readfirstlane_b32 s42, v27
	v_readfirstlane_b32 s43, v28
	s_nop 4
	global_store_dwordx4 v37, v[9:12], s[42:43]
	global_store_dwordx4 v37, v[13:16], s[42:43] offset:16
	global_store_dwordx4 v37, v[17:20], s[42:43] offset:32
	global_store_dwordx4 v37, v[21:24], s[42:43] offset:48
	s_and_saveexec_b64 s[42:43], s[4:5]
	s_cbranch_execz .LBB2_1117
; %bb.1110:                             ;   in Loop: Header=BB2_1045 Depth=2
	global_load_dwordx2 v[13:14], v2, s[34:35] offset:32 glc
	global_load_dwordx2 v[3:4], v2, s[34:35] offset:40
	v_mov_b32_e32 v11, s40
	v_mov_b32_e32 v12, s41
	s_waitcnt vmcnt(0)
	v_readfirstlane_b32 s44, v3
	v_readfirstlane_b32 s45, v4
	s_and_b64 s[44:45], s[44:45], s[40:41]
	s_mul_i32 s29, s45, 24
	s_mul_hi_u32 s45, s44, 24
	s_mul_i32 s44, s44, 24
	s_add_i32 s29, s45, s29
	v_mov_b32_e32 v1, s29
	v_add_co_u32_e32 v3, vcc, s44, v25
	v_addc_co_u32_e32 v4, vcc, v26, v1, vcc
	global_store_dwordx2 v[3:4], v[13:14], off
	s_waitcnt vmcnt(0)
	global_atomic_cmpswap_x2 v[11:12], v2, v[11:14], s[34:35] offset:32 glc
	s_waitcnt vmcnt(0)
	v_cmp_ne_u64_e32 vcc, v[11:12], v[13:14]
	s_and_saveexec_b64 s[44:45], vcc
	s_cbranch_execz .LBB2_1113
; %bb.1111:                             ;   in Loop: Header=BB2_1045 Depth=2
	s_mov_b64 s[46:47], 0
.LBB2_1112:                             ;   Parent Loop BB2_448 Depth=1
                                        ;     Parent Loop BB2_1045 Depth=2
                                        ; =>    This Inner Loop Header: Depth=3
	s_sleep 1
	global_store_dwordx2 v[3:4], v[11:12], off
	v_mov_b32_e32 v9, s40
	v_mov_b32_e32 v10, s41
	s_waitcnt vmcnt(0)
	global_atomic_cmpswap_x2 v[9:10], v2, v[9:12], s[34:35] offset:32 glc
	s_waitcnt vmcnt(0)
	v_cmp_eq_u64_e32 vcc, v[9:10], v[11:12]
	v_mov_b32_e32 v12, v10
	s_or_b64 s[46:47], vcc, s[46:47]
	v_mov_b32_e32 v11, v9
	s_andn2_b64 exec, exec, s[46:47]
	s_cbranch_execnz .LBB2_1112
.LBB2_1113:                             ;   in Loop: Header=BB2_1045 Depth=2
	s_or_b64 exec, exec, s[44:45]
	global_load_dwordx2 v[3:4], v2, s[34:35] offset:16
	s_mov_b64 s[46:47], exec
	v_mbcnt_lo_u32_b32 v1, s46, 0
	v_mbcnt_hi_u32_b32 v1, s47, v1
	v_cmp_eq_u32_e32 vcc, 0, v1
	s_and_saveexec_b64 s[44:45], vcc
	s_cbranch_execz .LBB2_1115
; %bb.1114:                             ;   in Loop: Header=BB2_1045 Depth=2
	s_bcnt1_i32_b64 s29, s[46:47]
	v_mov_b32_e32 v1, s29
	s_waitcnt vmcnt(0)
	global_atomic_add_x2 v[3:4], v[1:2], off offset:8
.LBB2_1115:                             ;   in Loop: Header=BB2_1045 Depth=2
	s_or_b64 exec, exec, s[44:45]
	s_waitcnt vmcnt(0)
	global_load_dwordx2 v[9:10], v[3:4], off offset:16
	s_waitcnt vmcnt(0)
	v_cmp_eq_u64_e32 vcc, 0, v[9:10]
	s_cbranch_vccnz .LBB2_1117
; %bb.1116:                             ;   in Loop: Header=BB2_1045 Depth=2
	global_load_dword v1, v[3:4], off offset:24
	s_waitcnt vmcnt(0)
	v_readfirstlane_b32 s29, v1
	s_and_b32 m0, s29, 0xffffff
	global_store_dwordx2 v[9:10], v[1:2], off
	s_sendmsg sendmsg(MSG_INTERRUPT)
.LBB2_1117:                             ;   in Loop: Header=BB2_1045 Depth=2
	s_or_b64 exec, exec, s[42:43]
	v_add_co_u32_e32 v3, vcc, v27, v37
	v_addc_co_u32_e32 v4, vcc, 0, v28, vcc
	s_branch .LBB2_1121
.LBB2_1118:                             ;   in Loop: Header=BB2_1121 Depth=3
	s_or_b64 exec, exec, s[42:43]
	v_readfirstlane_b32 s29, v1
	s_cmp_eq_u32 s29, 0
	s_cbranch_scc1 .LBB2_1120
; %bb.1119:                             ;   in Loop: Header=BB2_1121 Depth=3
	s_sleep 1
	s_cbranch_execnz .LBB2_1121
	s_branch .LBB2_1123
.LBB2_1120:                             ;   in Loop: Header=BB2_1045 Depth=2
	s_branch .LBB2_1123
.LBB2_1121:                             ;   Parent Loop BB2_448 Depth=1
                                        ;     Parent Loop BB2_1045 Depth=2
                                        ; =>    This Inner Loop Header: Depth=3
	v_mov_b32_e32 v1, 1
	s_and_saveexec_b64 s[42:43], s[4:5]
	s_cbranch_execz .LBB2_1118
; %bb.1122:                             ;   in Loop: Header=BB2_1121 Depth=3
	global_load_dword v1, v[29:30], off offset:20 glc
	s_waitcnt vmcnt(0)
	buffer_wbinvl1_vol
	v_and_b32_e32 v1, 1, v1
	s_branch .LBB2_1118
.LBB2_1123:                             ;   in Loop: Header=BB2_1045 Depth=2
	global_load_dwordx2 v[9:10], v[3:4], off
	s_and_saveexec_b64 s[42:43], s[4:5]
	s_cbranch_execz .LBB2_1044
; %bb.1124:                             ;   in Loop: Header=BB2_1045 Depth=2
	global_load_dwordx2 v[3:4], v2, s[34:35] offset:40
	global_load_dwordx2 v[15:16], v2, s[34:35] offset:24 glc
	global_load_dwordx2 v[11:12], v2, s[34:35]
	s_waitcnt vmcnt(2)
	v_readfirstlane_b32 s44, v3
	v_readfirstlane_b32 s45, v4
	s_add_u32 s29, s44, 1
	s_addc_u32 s46, s45, 0
	s_add_u32 s4, s29, s40
	s_addc_u32 s5, s46, s41
	s_cmp_eq_u64 s[4:5], 0
	s_cselect_b32 s5, s46, s5
	s_cselect_b32 s4, s29, s4
	s_and_b64 s[40:41], s[4:5], s[44:45]
	s_mul_i32 s29, s41, 24
	s_mul_hi_u32 s41, s40, 24
	s_mul_i32 s40, s40, 24
	s_add_i32 s29, s41, s29
	v_mov_b32_e32 v1, s29
	s_waitcnt vmcnt(0)
	v_add_co_u32_e32 v3, vcc, s40, v11
	v_addc_co_u32_e32 v4, vcc, v12, v1, vcc
	v_mov_b32_e32 v13, s4
	global_store_dwordx2 v[3:4], v[15:16], off
	v_mov_b32_e32 v14, s5
	s_waitcnt vmcnt(0)
	global_atomic_cmpswap_x2 v[13:14], v2, v[13:16], s[34:35] offset:24 glc
	s_waitcnt vmcnt(0)
	v_cmp_ne_u64_e32 vcc, v[13:14], v[15:16]
	s_and_b64 exec, exec, vcc
	s_cbranch_execz .LBB2_1044
; %bb.1125:                             ;   in Loop: Header=BB2_1045 Depth=2
	s_mov_b64 s[40:41], 0
.LBB2_1126:                             ;   Parent Loop BB2_448 Depth=1
                                        ;     Parent Loop BB2_1045 Depth=2
                                        ; =>    This Inner Loop Header: Depth=3
	s_sleep 1
	global_store_dwordx2 v[3:4], v[13:14], off
	v_mov_b32_e32 v11, s4
	v_mov_b32_e32 v12, s5
	s_waitcnt vmcnt(0)
	global_atomic_cmpswap_x2 v[11:12], v2, v[11:14], s[34:35] offset:24 glc
	s_waitcnt vmcnt(0)
	v_cmp_eq_u64_e32 vcc, v[11:12], v[13:14]
	v_mov_b32_e32 v14, v12
	s_or_b64 s[40:41], vcc, s[40:41]
	v_mov_b32_e32 v13, v11
	s_andn2_b64 exec, exec, s[40:41]
	s_cbranch_execnz .LBB2_1126
	s_branch .LBB2_1044
.LBB2_1127:                             ;   in Loop: Header=BB2_448 Depth=1
	s_branch .LBB2_1156
.LBB2_1128:                             ;   in Loop: Header=BB2_448 Depth=1
                                        ; implicit-def: $vgpr9_vgpr10
	s_cbranch_execz .LBB2_1156
; %bb.1129:                             ;   in Loop: Header=BB2_448 Depth=1
	v_readfirstlane_b32 s4, v38
	v_mov_b32_e32 v3, 0
	v_mov_b32_e32 v4, 0
	v_cmp_eq_u32_e64 s[4:5], s4, v38
	s_and_saveexec_b64 s[24:25], s[4:5]
	s_cbranch_execz .LBB2_1135
; %bb.1130:                             ;   in Loop: Header=BB2_448 Depth=1
	global_load_dwordx2 v[11:12], v2, s[34:35] offset:24 glc
	s_waitcnt vmcnt(0)
	buffer_wbinvl1_vol
	global_load_dwordx2 v[3:4], v2, s[34:35] offset:40
	global_load_dwordx2 v[9:10], v2, s[34:35]
	s_waitcnt vmcnt(1)
	v_and_b32_e32 v1, v3, v11
	v_and_b32_e32 v3, v4, v12
	v_mul_lo_u32 v3, v3, 24
	v_mul_hi_u32 v4, v1, 24
	v_mul_lo_u32 v1, v1, 24
	v_add_u32_e32 v4, v4, v3
	s_waitcnt vmcnt(0)
	v_add_co_u32_e32 v3, vcc, v9, v1
	v_addc_co_u32_e32 v4, vcc, v10, v4, vcc
	global_load_dwordx2 v[9:10], v[3:4], off glc
	s_waitcnt vmcnt(0)
	global_atomic_cmpswap_x2 v[3:4], v2, v[9:12], s[34:35] offset:24 glc
	s_waitcnt vmcnt(0)
	buffer_wbinvl1_vol
	v_cmp_ne_u64_e32 vcc, v[3:4], v[11:12]
	s_and_saveexec_b64 s[36:37], vcc
	s_cbranch_execz .LBB2_1134
; %bb.1131:                             ;   in Loop: Header=BB2_448 Depth=1
	s_mov_b64 s[38:39], 0
.LBB2_1132:                             ;   Parent Loop BB2_448 Depth=1
                                        ; =>  This Inner Loop Header: Depth=2
	s_sleep 1
	global_load_dwordx2 v[9:10], v2, s[34:35] offset:40
	global_load_dwordx2 v[13:14], v2, s[34:35]
	v_mov_b32_e32 v12, v4
	v_mov_b32_e32 v11, v3
	s_waitcnt vmcnt(1)
	v_and_b32_e32 v1, v9, v11
	s_waitcnt vmcnt(0)
	v_mad_u64_u32 v[3:4], s[40:41], v1, 24, v[13:14]
	v_and_b32_e32 v9, v10, v12
	v_mov_b32_e32 v1, v4
	v_mad_u64_u32 v[9:10], s[40:41], v9, 24, v[1:2]
	v_mov_b32_e32 v4, v9
	global_load_dwordx2 v[9:10], v[3:4], off glc
	s_waitcnt vmcnt(0)
	global_atomic_cmpswap_x2 v[3:4], v2, v[9:12], s[34:35] offset:24 glc
	s_waitcnt vmcnt(0)
	buffer_wbinvl1_vol
	v_cmp_eq_u64_e32 vcc, v[3:4], v[11:12]
	s_or_b64 s[38:39], vcc, s[38:39]
	s_andn2_b64 exec, exec, s[38:39]
	s_cbranch_execnz .LBB2_1132
; %bb.1133:                             ;   in Loop: Header=BB2_448 Depth=1
	s_or_b64 exec, exec, s[38:39]
.LBB2_1134:                             ;   in Loop: Header=BB2_448 Depth=1
	s_or_b64 exec, exec, s[36:37]
.LBB2_1135:                             ;   in Loop: Header=BB2_448 Depth=1
	s_or_b64 exec, exec, s[24:25]
	global_load_dwordx2 v[9:10], v2, s[34:35] offset:40
	global_load_dwordx4 v[11:14], v2, s[34:35]
	v_readfirstlane_b32 s25, v4
	v_readfirstlane_b32 s24, v3
	s_mov_b64 s[36:37], exec
	s_waitcnt vmcnt(1)
	v_readfirstlane_b32 s38, v9
	v_readfirstlane_b32 s39, v10
	s_and_b64 s[38:39], s[38:39], s[24:25]
	s_mul_i32 s29, s39, 24
	s_mul_hi_u32 s40, s38, 24
	s_mul_i32 s41, s38, 24
	s_add_i32 s29, s40, s29
	v_mov_b32_e32 v1, s29
	s_waitcnt vmcnt(0)
	v_add_co_u32_e32 v15, vcc, s41, v11
	v_addc_co_u32_e32 v16, vcc, v12, v1, vcc
	s_and_saveexec_b64 s[40:41], s[4:5]
	s_cbranch_execz .LBB2_1137
; %bb.1136:                             ;   in Loop: Header=BB2_448 Depth=1
	v_mov_b32_e32 v3, s36
	v_mov_b32_e32 v4, s37
	global_store_dwordx4 v[15:16], v[3:6], off offset:8
.LBB2_1137:                             ;   in Loop: Header=BB2_448 Depth=1
	s_or_b64 exec, exec, s[40:41]
	s_lshl_b64 s[36:37], s[38:39], 12
	v_mov_b32_e32 v1, s37
	v_add_co_u32_e32 v13, vcc, s36, v13
	v_addc_co_u32_e32 v14, vcc, v14, v1, vcc
	v_and_or_b32 v7, v7, s33, 32
	v_mov_b32_e32 v9, v2
	v_mov_b32_e32 v10, v2
	v_readfirstlane_b32 s36, v13
	v_readfirstlane_b32 s37, v14
	s_nop 4
	global_store_dwordx4 v37, v[7:10], s[36:37]
	s_nop 0
	v_mov_b32_e32 v7, s12
	v_mov_b32_e32 v8, s13
	;; [unrolled: 1-line block ×4, first 2 shown]
	global_store_dwordx4 v37, v[7:10], s[36:37] offset:16
	global_store_dwordx4 v37, v[7:10], s[36:37] offset:32
	global_store_dwordx4 v37, v[7:10], s[36:37] offset:48
	s_and_saveexec_b64 s[36:37], s[4:5]
	s_cbranch_execz .LBB2_1145
; %bb.1138:                             ;   in Loop: Header=BB2_448 Depth=1
	global_load_dwordx2 v[19:20], v2, s[34:35] offset:32 glc
	global_load_dwordx2 v[3:4], v2, s[34:35] offset:40
	v_mov_b32_e32 v17, s24
	v_mov_b32_e32 v18, s25
	s_waitcnt vmcnt(0)
	v_readfirstlane_b32 s38, v3
	v_readfirstlane_b32 s39, v4
	s_and_b64 s[38:39], s[38:39], s[24:25]
	s_mul_i32 s29, s39, 24
	s_mul_hi_u32 s39, s38, 24
	s_mul_i32 s38, s38, 24
	s_add_i32 s29, s39, s29
	v_mov_b32_e32 v1, s29
	v_add_co_u32_e32 v3, vcc, s38, v11
	v_addc_co_u32_e32 v4, vcc, v12, v1, vcc
	global_store_dwordx2 v[3:4], v[19:20], off
	s_waitcnt vmcnt(0)
	global_atomic_cmpswap_x2 v[9:10], v2, v[17:20], s[34:35] offset:32 glc
	s_waitcnt vmcnt(0)
	v_cmp_ne_u64_e32 vcc, v[9:10], v[19:20]
	s_and_saveexec_b64 s[38:39], vcc
	s_cbranch_execz .LBB2_1141
; %bb.1139:                             ;   in Loop: Header=BB2_448 Depth=1
	s_mov_b64 s[40:41], 0
.LBB2_1140:                             ;   Parent Loop BB2_448 Depth=1
                                        ; =>  This Inner Loop Header: Depth=2
	s_sleep 1
	global_store_dwordx2 v[3:4], v[9:10], off
	v_mov_b32_e32 v7, s24
	v_mov_b32_e32 v8, s25
	s_waitcnt vmcnt(0)
	global_atomic_cmpswap_x2 v[7:8], v2, v[7:10], s[34:35] offset:32 glc
	s_waitcnt vmcnt(0)
	v_cmp_eq_u64_e32 vcc, v[7:8], v[9:10]
	v_mov_b32_e32 v10, v8
	s_or_b64 s[40:41], vcc, s[40:41]
	v_mov_b32_e32 v9, v7
	s_andn2_b64 exec, exec, s[40:41]
	s_cbranch_execnz .LBB2_1140
.LBB2_1141:                             ;   in Loop: Header=BB2_448 Depth=1
	s_or_b64 exec, exec, s[38:39]
	global_load_dwordx2 v[3:4], v2, s[34:35] offset:16
	s_mov_b64 s[40:41], exec
	v_mbcnt_lo_u32_b32 v1, s40, 0
	v_mbcnt_hi_u32_b32 v1, s41, v1
	v_cmp_eq_u32_e32 vcc, 0, v1
	s_and_saveexec_b64 s[38:39], vcc
	s_cbranch_execz .LBB2_1143
; %bb.1142:                             ;   in Loop: Header=BB2_448 Depth=1
	s_bcnt1_i32_b64 s29, s[40:41]
	v_mov_b32_e32 v1, s29
	s_waitcnt vmcnt(0)
	global_atomic_add_x2 v[3:4], v[1:2], off offset:8
.LBB2_1143:                             ;   in Loop: Header=BB2_448 Depth=1
	s_or_b64 exec, exec, s[38:39]
	s_waitcnt vmcnt(0)
	global_load_dwordx2 v[7:8], v[3:4], off offset:16
	s_waitcnt vmcnt(0)
	v_cmp_eq_u64_e32 vcc, 0, v[7:8]
	s_cbranch_vccnz .LBB2_1145
; %bb.1144:                             ;   in Loop: Header=BB2_448 Depth=1
	global_load_dword v1, v[3:4], off offset:24
	s_waitcnt vmcnt(0)
	v_readfirstlane_b32 s29, v1
	s_and_b32 m0, s29, 0xffffff
	global_store_dwordx2 v[7:8], v[1:2], off
	s_sendmsg sendmsg(MSG_INTERRUPT)
.LBB2_1145:                             ;   in Loop: Header=BB2_448 Depth=1
	s_or_b64 exec, exec, s[36:37]
	v_add_co_u32_e32 v3, vcc, v13, v37
	v_addc_co_u32_e32 v4, vcc, 0, v14, vcc
	s_branch .LBB2_1149
.LBB2_1146:                             ;   in Loop: Header=BB2_1149 Depth=2
	s_or_b64 exec, exec, s[36:37]
	v_readfirstlane_b32 s29, v1
	s_cmp_eq_u32 s29, 0
	s_cbranch_scc1 .LBB2_1148
; %bb.1147:                             ;   in Loop: Header=BB2_1149 Depth=2
	s_sleep 1
	s_cbranch_execnz .LBB2_1149
	s_branch .LBB2_1151
.LBB2_1148:                             ;   in Loop: Header=BB2_448 Depth=1
	s_branch .LBB2_1151
.LBB2_1149:                             ;   Parent Loop BB2_448 Depth=1
                                        ; =>  This Inner Loop Header: Depth=2
	v_mov_b32_e32 v1, 1
	s_and_saveexec_b64 s[36:37], s[4:5]
	s_cbranch_execz .LBB2_1146
; %bb.1150:                             ;   in Loop: Header=BB2_1149 Depth=2
	global_load_dword v1, v[15:16], off offset:20 glc
	s_waitcnt vmcnt(0)
	buffer_wbinvl1_vol
	v_and_b32_e32 v1, 1, v1
	s_branch .LBB2_1146
.LBB2_1151:                             ;   in Loop: Header=BB2_448 Depth=1
	global_load_dwordx2 v[9:10], v[3:4], off
	s_and_saveexec_b64 s[36:37], s[4:5]
	s_cbranch_execz .LBB2_1155
; %bb.1152:                             ;   in Loop: Header=BB2_448 Depth=1
	global_load_dwordx2 v[3:4], v2, s[34:35] offset:40
	global_load_dwordx2 v[15:16], v2, s[34:35] offset:24 glc
	global_load_dwordx2 v[7:8], v2, s[34:35]
	s_waitcnt vmcnt(2)
	v_readfirstlane_b32 s38, v3
	v_readfirstlane_b32 s39, v4
	s_add_u32 s29, s38, 1
	s_addc_u32 s40, s39, 0
	s_add_u32 s4, s29, s24
	s_addc_u32 s5, s40, s25
	s_cmp_eq_u64 s[4:5], 0
	s_cselect_b32 s5, s40, s5
	s_cselect_b32 s4, s29, s4
	s_and_b64 s[24:25], s[4:5], s[38:39]
	s_mul_i32 s25, s25, 24
	s_mul_hi_u32 s29, s24, 24
	s_mul_i32 s24, s24, 24
	s_add_i32 s25, s29, s25
	v_mov_b32_e32 v1, s25
	s_waitcnt vmcnt(0)
	v_add_co_u32_e32 v3, vcc, s24, v7
	v_addc_co_u32_e32 v4, vcc, v8, v1, vcc
	v_mov_b32_e32 v13, s4
	global_store_dwordx2 v[3:4], v[15:16], off
	v_mov_b32_e32 v14, s5
	s_waitcnt vmcnt(0)
	global_atomic_cmpswap_x2 v[13:14], v2, v[13:16], s[34:35] offset:24 glc
	s_waitcnt vmcnt(0)
	v_cmp_ne_u64_e32 vcc, v[13:14], v[15:16]
	s_and_b64 exec, exec, vcc
	s_cbranch_execz .LBB2_1155
; %bb.1153:                             ;   in Loop: Header=BB2_448 Depth=1
	s_mov_b64 s[24:25], 0
.LBB2_1154:                             ;   Parent Loop BB2_448 Depth=1
                                        ; =>  This Inner Loop Header: Depth=2
	s_sleep 1
	global_store_dwordx2 v[3:4], v[13:14], off
	v_mov_b32_e32 v11, s4
	v_mov_b32_e32 v12, s5
	s_waitcnt vmcnt(0)
	global_atomic_cmpswap_x2 v[7:8], v2, v[11:14], s[34:35] offset:24 glc
	s_waitcnt vmcnt(0)
	v_cmp_eq_u64_e32 vcc, v[7:8], v[13:14]
	v_mov_b32_e32 v14, v8
	s_or_b64 s[24:25], vcc, s[24:25]
	v_mov_b32_e32 v13, v7
	s_andn2_b64 exec, exec, s[24:25]
	s_cbranch_execnz .LBB2_1154
.LBB2_1155:                             ;   in Loop: Header=BB2_448 Depth=1
	s_or_b64 exec, exec, s[36:37]
.LBB2_1156:                             ;   in Loop: Header=BB2_448 Depth=1
	v_readfirstlane_b32 s4, v38
	v_mov_b32_e32 v3, 0
	v_mov_b32_e32 v4, 0
	v_cmp_eq_u32_e64 s[4:5], s4, v38
	s_and_saveexec_b64 s[24:25], s[4:5]
	s_cbranch_execz .LBB2_1162
; %bb.1157:                             ;   in Loop: Header=BB2_448 Depth=1
	global_load_dwordx2 v[13:14], v2, s[34:35] offset:24 glc
	s_waitcnt vmcnt(0)
	buffer_wbinvl1_vol
	global_load_dwordx2 v[3:4], v2, s[34:35] offset:40
	global_load_dwordx2 v[7:8], v2, s[34:35]
	s_waitcnt vmcnt(1)
	v_and_b32_e32 v1, v3, v13
	v_and_b32_e32 v3, v4, v14
	v_mul_lo_u32 v3, v3, 24
	v_mul_hi_u32 v4, v1, 24
	v_mul_lo_u32 v1, v1, 24
	v_add_u32_e32 v4, v4, v3
	s_waitcnt vmcnt(0)
	v_add_co_u32_e32 v3, vcc, v7, v1
	v_addc_co_u32_e32 v4, vcc, v8, v4, vcc
	global_load_dwordx2 v[11:12], v[3:4], off glc
	s_waitcnt vmcnt(0)
	global_atomic_cmpswap_x2 v[3:4], v2, v[11:14], s[34:35] offset:24 glc
	s_waitcnt vmcnt(0)
	buffer_wbinvl1_vol
	v_cmp_ne_u64_e32 vcc, v[3:4], v[13:14]
	s_and_saveexec_b64 s[36:37], vcc
	s_cbranch_execz .LBB2_1161
; %bb.1158:                             ;   in Loop: Header=BB2_448 Depth=1
	s_mov_b64 s[38:39], 0
.LBB2_1159:                             ;   Parent Loop BB2_448 Depth=1
                                        ; =>  This Inner Loop Header: Depth=2
	s_sleep 1
	global_load_dwordx2 v[7:8], v2, s[34:35] offset:40
	global_load_dwordx2 v[11:12], v2, s[34:35]
	v_mov_b32_e32 v14, v4
	v_mov_b32_e32 v13, v3
	s_waitcnt vmcnt(1)
	v_and_b32_e32 v1, v7, v13
	s_waitcnt vmcnt(0)
	v_mad_u64_u32 v[3:4], s[40:41], v1, 24, v[11:12]
	v_and_b32_e32 v7, v8, v14
	v_mov_b32_e32 v1, v4
	v_mad_u64_u32 v[7:8], s[40:41], v7, 24, v[1:2]
	v_mov_b32_e32 v4, v7
	global_load_dwordx2 v[11:12], v[3:4], off glc
	s_waitcnt vmcnt(0)
	global_atomic_cmpswap_x2 v[3:4], v2, v[11:14], s[34:35] offset:24 glc
	s_waitcnt vmcnt(0)
	buffer_wbinvl1_vol
	v_cmp_eq_u64_e32 vcc, v[3:4], v[13:14]
	s_or_b64 s[38:39], vcc, s[38:39]
	s_andn2_b64 exec, exec, s[38:39]
	s_cbranch_execnz .LBB2_1159
; %bb.1160:                             ;   in Loop: Header=BB2_448 Depth=1
	s_or_b64 exec, exec, s[38:39]
.LBB2_1161:                             ;   in Loop: Header=BB2_448 Depth=1
	s_or_b64 exec, exec, s[36:37]
.LBB2_1162:                             ;   in Loop: Header=BB2_448 Depth=1
	s_or_b64 exec, exec, s[24:25]
	global_load_dwordx2 v[7:8], v2, s[34:35] offset:40
	global_load_dwordx4 v[13:16], v2, s[34:35]
	v_readfirstlane_b32 s25, v4
	v_readfirstlane_b32 s24, v3
	s_mov_b64 s[36:37], exec
	s_waitcnt vmcnt(1)
	v_readfirstlane_b32 s38, v7
	v_readfirstlane_b32 s39, v8
	s_and_b64 s[38:39], s[38:39], s[24:25]
	s_mul_i32 s29, s39, 24
	s_mul_hi_u32 s40, s38, 24
	s_mul_i32 s41, s38, 24
	s_add_i32 s29, s40, s29
	v_mov_b32_e32 v1, s29
	s_waitcnt vmcnt(0)
	v_add_co_u32_e32 v17, vcc, s41, v13
	v_addc_co_u32_e32 v18, vcc, v14, v1, vcc
	s_and_saveexec_b64 s[40:41], s[4:5]
	s_cbranch_execz .LBB2_1164
; %bb.1163:                             ;   in Loop: Header=BB2_448 Depth=1
	v_mov_b32_e32 v3, s36
	v_mov_b32_e32 v4, s37
	global_store_dwordx4 v[17:18], v[3:6], off offset:8
.LBB2_1164:                             ;   in Loop: Header=BB2_448 Depth=1
	s_or_b64 exec, exec, s[40:41]
	s_lshl_b64 s[36:37], s[38:39], 12
	v_mov_b32_e32 v1, s37
	v_add_co_u32_e32 v3, vcc, s36, v15
	v_addc_co_u32_e32 v1, vcc, v16, v1, vcc
	s_ashr_i32 s23, s23, 1
	v_and_or_b32 v9, v9, s48, 34
	v_mov_b32_e32 v11, s23
	v_mov_b32_e32 v12, v2
	v_readfirstlane_b32 s36, v3
	v_readfirstlane_b32 s37, v1
	s_nop 4
	global_store_dwordx4 v37, v[9:12], s[36:37]
	v_mov_b32_e32 v7, s12
	v_mov_b32_e32 v8, s13
	v_mov_b32_e32 v9, s14
	v_mov_b32_e32 v10, s15
	global_store_dwordx4 v37, v[7:10], s[36:37] offset:16
	global_store_dwordx4 v37, v[7:10], s[36:37] offset:32
	;; [unrolled: 1-line block ×3, first 2 shown]
	s_and_saveexec_b64 s[36:37], s[4:5]
	s_cbranch_execz .LBB2_1172
; %bb.1165:                             ;   in Loop: Header=BB2_448 Depth=1
	global_load_dwordx2 v[11:12], v2, s[34:35] offset:32 glc
	global_load_dwordx2 v[3:4], v2, s[34:35] offset:40
	v_mov_b32_e32 v9, s24
	v_mov_b32_e32 v10, s25
	s_waitcnt vmcnt(0)
	v_readfirstlane_b32 s38, v3
	v_readfirstlane_b32 s39, v4
	s_and_b64 s[38:39], s[38:39], s[24:25]
	s_mul_i32 s23, s39, 24
	s_mul_hi_u32 s29, s38, 24
	s_mul_i32 s38, s38, 24
	s_add_i32 s23, s29, s23
	v_mov_b32_e32 v1, s23
	v_add_co_u32_e32 v3, vcc, s38, v13
	v_addc_co_u32_e32 v4, vcc, v14, v1, vcc
	global_store_dwordx2 v[3:4], v[11:12], off
	s_waitcnt vmcnt(0)
	global_atomic_cmpswap_x2 v[9:10], v2, v[9:12], s[34:35] offset:32 glc
	s_waitcnt vmcnt(0)
	v_cmp_ne_u64_e32 vcc, v[9:10], v[11:12]
	s_and_saveexec_b64 s[38:39], vcc
	s_cbranch_execz .LBB2_1168
; %bb.1166:                             ;   in Loop: Header=BB2_448 Depth=1
	s_mov_b64 s[40:41], 0
.LBB2_1167:                             ;   Parent Loop BB2_448 Depth=1
                                        ; =>  This Inner Loop Header: Depth=2
	s_sleep 1
	global_store_dwordx2 v[3:4], v[9:10], off
	v_mov_b32_e32 v7, s24
	v_mov_b32_e32 v8, s25
	s_waitcnt vmcnt(0)
	global_atomic_cmpswap_x2 v[7:8], v2, v[7:10], s[34:35] offset:32 glc
	s_waitcnt vmcnt(0)
	v_cmp_eq_u64_e32 vcc, v[7:8], v[9:10]
	v_mov_b32_e32 v10, v8
	s_or_b64 s[40:41], vcc, s[40:41]
	v_mov_b32_e32 v9, v7
	s_andn2_b64 exec, exec, s[40:41]
	s_cbranch_execnz .LBB2_1167
.LBB2_1168:                             ;   in Loop: Header=BB2_448 Depth=1
	s_or_b64 exec, exec, s[38:39]
	global_load_dwordx2 v[3:4], v2, s[34:35] offset:16
	s_mov_b64 s[40:41], exec
	v_mbcnt_lo_u32_b32 v1, s40, 0
	v_mbcnt_hi_u32_b32 v1, s41, v1
	v_cmp_eq_u32_e32 vcc, 0, v1
	s_and_saveexec_b64 s[38:39], vcc
	s_cbranch_execz .LBB2_1170
; %bb.1169:                             ;   in Loop: Header=BB2_448 Depth=1
	s_bcnt1_i32_b64 s23, s[40:41]
	v_mov_b32_e32 v1, s23
	s_waitcnt vmcnt(0)
	global_atomic_add_x2 v[3:4], v[1:2], off offset:8
.LBB2_1170:                             ;   in Loop: Header=BB2_448 Depth=1
	s_or_b64 exec, exec, s[38:39]
	s_waitcnt vmcnt(0)
	global_load_dwordx2 v[7:8], v[3:4], off offset:16
	s_waitcnt vmcnt(0)
	v_cmp_eq_u64_e32 vcc, 0, v[7:8]
	s_cbranch_vccnz .LBB2_1172
; %bb.1171:                             ;   in Loop: Header=BB2_448 Depth=1
	global_load_dword v1, v[3:4], off offset:24
	s_waitcnt vmcnt(0)
	v_readfirstlane_b32 s23, v1
	s_and_b32 m0, s23, 0xffffff
	global_store_dwordx2 v[7:8], v[1:2], off
	s_sendmsg sendmsg(MSG_INTERRUPT)
.LBB2_1172:                             ;   in Loop: Header=BB2_448 Depth=1
	s_or_b64 exec, exec, s[36:37]
	s_branch .LBB2_1176
.LBB2_1173:                             ;   in Loop: Header=BB2_1176 Depth=2
	s_or_b64 exec, exec, s[36:37]
	v_readfirstlane_b32 s23, v1
	s_cmp_eq_u32 s23, 0
	s_cbranch_scc1 .LBB2_1175
; %bb.1174:                             ;   in Loop: Header=BB2_1176 Depth=2
	s_sleep 1
	s_cbranch_execnz .LBB2_1176
	s_branch .LBB2_1178
.LBB2_1175:                             ;   in Loop: Header=BB2_448 Depth=1
	s_branch .LBB2_1178
.LBB2_1176:                             ;   Parent Loop BB2_448 Depth=1
                                        ; =>  This Inner Loop Header: Depth=2
	v_mov_b32_e32 v1, 1
	s_and_saveexec_b64 s[36:37], s[4:5]
	s_cbranch_execz .LBB2_1173
; %bb.1177:                             ;   in Loop: Header=BB2_1176 Depth=2
	global_load_dword v1, v[17:18], off offset:20 glc
	s_waitcnt vmcnt(0)
	buffer_wbinvl1_vol
	v_and_b32_e32 v1, 1, v1
	s_branch .LBB2_1173
.LBB2_1178:                             ;   in Loop: Header=BB2_448 Depth=1
	s_and_saveexec_b64 s[36:37], s[4:5]
	s_cbranch_execz .LBB2_447
; %bb.1179:                             ;   in Loop: Header=BB2_448 Depth=1
	global_load_dwordx2 v[3:4], v2, s[34:35] offset:40
	global_load_dwordx2 v[11:12], v2, s[34:35] offset:24 glc
	global_load_dwordx2 v[7:8], v2, s[34:35]
	s_waitcnt vmcnt(2)
	v_readfirstlane_b32 s38, v3
	v_readfirstlane_b32 s39, v4
	s_add_u32 s23, s38, 1
	s_addc_u32 s29, s39, 0
	s_add_u32 s4, s23, s24
	s_addc_u32 s5, s29, s25
	s_cmp_eq_u64 s[4:5], 0
	s_cselect_b32 s5, s29, s5
	s_cselect_b32 s4, s23, s4
	s_and_b64 s[24:25], s[4:5], s[38:39]
	s_mul_i32 s23, s25, 24
	s_mul_hi_u32 s25, s24, 24
	s_mul_i32 s24, s24, 24
	s_add_i32 s23, s25, s23
	v_mov_b32_e32 v1, s23
	s_waitcnt vmcnt(0)
	v_add_co_u32_e32 v3, vcc, s24, v7
	v_addc_co_u32_e32 v4, vcc, v8, v1, vcc
	v_mov_b32_e32 v9, s4
	global_store_dwordx2 v[3:4], v[11:12], off
	v_mov_b32_e32 v10, s5
	s_waitcnt vmcnt(0)
	global_atomic_cmpswap_x2 v[9:10], v2, v[9:12], s[34:35] offset:24 glc
	s_waitcnt vmcnt(0)
	v_cmp_ne_u64_e32 vcc, v[9:10], v[11:12]
	s_and_b64 exec, exec, vcc
	s_cbranch_execz .LBB2_447
; %bb.1180:                             ;   in Loop: Header=BB2_448 Depth=1
	s_mov_b64 s[24:25], 0
.LBB2_1181:                             ;   Parent Loop BB2_448 Depth=1
                                        ; =>  This Inner Loop Header: Depth=2
	s_sleep 1
	global_store_dwordx2 v[3:4], v[9:10], off
	v_mov_b32_e32 v7, s4
	v_mov_b32_e32 v8, s5
	s_waitcnt vmcnt(0)
	global_atomic_cmpswap_x2 v[7:8], v2, v[7:10], s[34:35] offset:24 glc
	s_waitcnt vmcnt(0)
	v_cmp_eq_u64_e32 vcc, v[7:8], v[9:10]
	v_mov_b32_e32 v10, v8
	s_or_b64 s[24:25], vcc, s[24:25]
	v_mov_b32_e32 v9, v7
	s_andn2_b64 exec, exec, s[24:25]
	s_cbranch_execnz .LBB2_1181
	s_branch .LBB2_447
.LBB2_1182:
	v_readfirstlane_b32 s4, v38
	s_waitcnt vmcnt(0)
	v_mov_b32_e32 v5, 0
	v_mov_b32_e32 v6, 0
	v_cmp_eq_u32_e64 s[4:5], s4, v38
	s_waitcnt lgkmcnt(0)
	s_and_saveexec_b64 s[8:9], s[4:5]
	s_cbranch_execz .LBB2_1188
; %bb.1183:
	v_mov_b32_e32 v0, 0
	global_load_dwordx2 v[3:4], v0, s[34:35] offset:24 glc
	s_waitcnt vmcnt(0)
	buffer_wbinvl1_vol
	global_load_dwordx2 v[1:2], v0, s[34:35] offset:40
	global_load_dwordx2 v[5:6], v0, s[34:35]
	s_waitcnt vmcnt(1)
	v_and_b32_e32 v1, v1, v3
	v_and_b32_e32 v2, v2, v4
	v_mul_lo_u32 v2, v2, 24
	v_mul_hi_u32 v7, v1, 24
	v_mul_lo_u32 v1, v1, 24
	v_add_u32_e32 v2, v7, v2
	s_waitcnt vmcnt(0)
	v_add_co_u32_e32 v1, vcc, v5, v1
	v_addc_co_u32_e32 v2, vcc, v6, v2, vcc
	global_load_dwordx2 v[1:2], v[1:2], off glc
	s_waitcnt vmcnt(0)
	global_atomic_cmpswap_x2 v[5:6], v0, v[1:4], s[34:35] offset:24 glc
	s_waitcnt vmcnt(0)
	buffer_wbinvl1_vol
	v_cmp_ne_u64_e32 vcc, v[5:6], v[3:4]
	s_and_saveexec_b64 s[10:11], vcc
	s_cbranch_execz .LBB2_1187
; %bb.1184:
	s_mov_b64 s[12:13], 0
.LBB2_1185:                             ; =>This Inner Loop Header: Depth=1
	s_sleep 1
	global_load_dwordx2 v[1:2], v0, s[34:35] offset:40
	global_load_dwordx2 v[7:8], v0, s[34:35]
	v_mov_b32_e32 v3, v5
	v_mov_b32_e32 v4, v6
	s_waitcnt vmcnt(1)
	v_and_b32_e32 v1, v1, v3
	s_waitcnt vmcnt(0)
	v_mad_u64_u32 v[5:6], s[14:15], v1, 24, v[7:8]
	v_and_b32_e32 v2, v2, v4
	v_mov_b32_e32 v1, v6
	v_mad_u64_u32 v[1:2], s[14:15], v2, 24, v[1:2]
	v_mov_b32_e32 v6, v1
	global_load_dwordx2 v[1:2], v[5:6], off glc
	s_waitcnt vmcnt(0)
	global_atomic_cmpswap_x2 v[5:6], v0, v[1:4], s[34:35] offset:24 glc
	s_waitcnt vmcnt(0)
	buffer_wbinvl1_vol
	v_cmp_eq_u64_e32 vcc, v[5:6], v[3:4]
	s_or_b64 s[12:13], vcc, s[12:13]
	s_andn2_b64 exec, exec, s[12:13]
	s_cbranch_execnz .LBB2_1185
; %bb.1186:
	s_or_b64 exec, exec, s[12:13]
.LBB2_1187:
	s_or_b64 exec, exec, s[10:11]
.LBB2_1188:
	s_or_b64 exec, exec, s[8:9]
	v_mov_b32_e32 v4, 0
	global_load_dwordx2 v[7:8], v4, s[34:35] offset:40
	global_load_dwordx4 v[0:3], v4, s[34:35]
	v_readfirstlane_b32 s9, v6
	v_readfirstlane_b32 s8, v5
	s_mov_b64 s[10:11], exec
	s_waitcnt vmcnt(1)
	v_readfirstlane_b32 s12, v7
	v_readfirstlane_b32 s13, v8
	s_and_b64 s[12:13], s[12:13], s[8:9]
	s_mul_i32 s14, s13, 24
	s_mul_hi_u32 s15, s12, 24
	s_mul_i32 s16, s12, 24
	s_add_i32 s14, s15, s14
	v_mov_b32_e32 v5, s14
	s_waitcnt vmcnt(0)
	v_add_co_u32_e32 v7, vcc, s16, v0
	v_addc_co_u32_e32 v8, vcc, v1, v5, vcc
	s_and_saveexec_b64 s[14:15], s[4:5]
	s_cbranch_execz .LBB2_1190
; %bb.1189:
	v_mov_b32_e32 v9, s10
	v_mov_b32_e32 v10, s11
	;; [unrolled: 1-line block ×4, first 2 shown]
	global_store_dwordx4 v[7:8], v[9:12], off offset:8
.LBB2_1190:
	s_or_b64 exec, exec, s[14:15]
	s_lshl_b64 s[10:11], s[12:13], 12
	v_mov_b32_e32 v5, s11
	v_add_co_u32_e32 v2, vcc, s10, v2
	v_addc_co_u32_e32 v11, vcc, v3, v5, vcc
	s_mov_b32 s12, 0
	v_mov_b32_e32 v3, 33
	v_mov_b32_e32 v5, v4
	;; [unrolled: 1-line block ×3, first 2 shown]
	v_readfirstlane_b32 s10, v2
	v_readfirstlane_b32 s11, v11
	v_add_co_u32_e32 v9, vcc, v2, v37
	s_mov_b32 s13, s12
	s_mov_b32 s14, s12
	;; [unrolled: 1-line block ×3, first 2 shown]
	s_nop 0
	global_store_dwordx4 v37, v[3:6], s[10:11]
	v_mov_b32_e32 v2, s12
	v_addc_co_u32_e32 v10, vcc, 0, v11, vcc
	v_mov_b32_e32 v3, s13
	v_mov_b32_e32 v4, s14
	;; [unrolled: 1-line block ×3, first 2 shown]
	global_store_dwordx4 v37, v[2:5], s[10:11] offset:16
	global_store_dwordx4 v37, v[2:5], s[10:11] offset:32
	;; [unrolled: 1-line block ×3, first 2 shown]
	s_and_saveexec_b64 s[10:11], s[4:5]
	s_cbranch_execz .LBB2_1198
; %bb.1191:
	v_mov_b32_e32 v6, 0
	global_load_dwordx2 v[13:14], v6, s[34:35] offset:32 glc
	global_load_dwordx2 v[2:3], v6, s[34:35] offset:40
	v_mov_b32_e32 v11, s8
	v_mov_b32_e32 v12, s9
	s_waitcnt vmcnt(0)
	v_readfirstlane_b32 s12, v2
	v_readfirstlane_b32 s13, v3
	s_and_b64 s[12:13], s[12:13], s[8:9]
	s_mul_i32 s13, s13, 24
	s_mul_hi_u32 s14, s12, 24
	s_mul_i32 s12, s12, 24
	s_add_i32 s13, s14, s13
	v_mov_b32_e32 v2, s13
	v_add_co_u32_e32 v4, vcc, s12, v0
	v_addc_co_u32_e32 v5, vcc, v1, v2, vcc
	global_store_dwordx2 v[4:5], v[13:14], off
	s_waitcnt vmcnt(0)
	global_atomic_cmpswap_x2 v[2:3], v6, v[11:14], s[34:35] offset:32 glc
	s_waitcnt vmcnt(0)
	v_cmp_ne_u64_e32 vcc, v[2:3], v[13:14]
	s_and_saveexec_b64 s[12:13], vcc
	s_cbranch_execz .LBB2_1194
; %bb.1192:
	s_mov_b64 s[14:15], 0
.LBB2_1193:                             ; =>This Inner Loop Header: Depth=1
	s_sleep 1
	global_store_dwordx2 v[4:5], v[2:3], off
	v_mov_b32_e32 v0, s8
	v_mov_b32_e32 v1, s9
	s_waitcnt vmcnt(0)
	global_atomic_cmpswap_x2 v[0:1], v6, v[0:3], s[34:35] offset:32 glc
	s_waitcnt vmcnt(0)
	v_cmp_eq_u64_e32 vcc, v[0:1], v[2:3]
	v_mov_b32_e32 v3, v1
	s_or_b64 s[14:15], vcc, s[14:15]
	v_mov_b32_e32 v2, v0
	s_andn2_b64 exec, exec, s[14:15]
	s_cbranch_execnz .LBB2_1193
.LBB2_1194:
	s_or_b64 exec, exec, s[12:13]
	v_mov_b32_e32 v3, 0
	global_load_dwordx2 v[0:1], v3, s[34:35] offset:16
	s_mov_b64 s[12:13], exec
	v_mbcnt_lo_u32_b32 v2, s12, 0
	v_mbcnt_hi_u32_b32 v2, s13, v2
	v_cmp_eq_u32_e32 vcc, 0, v2
	s_and_saveexec_b64 s[14:15], vcc
	s_cbranch_execz .LBB2_1196
; %bb.1195:
	s_bcnt1_i32_b64 s12, s[12:13]
	v_mov_b32_e32 v2, s12
	s_waitcnt vmcnt(0)
	global_atomic_add_x2 v[0:1], v[2:3], off offset:8
.LBB2_1196:
	s_or_b64 exec, exec, s[14:15]
	s_waitcnt vmcnt(0)
	global_load_dwordx2 v[2:3], v[0:1], off offset:16
	s_waitcnt vmcnt(0)
	v_cmp_eq_u64_e32 vcc, 0, v[2:3]
	s_cbranch_vccnz .LBB2_1198
; %bb.1197:
	global_load_dword v0, v[0:1], off offset:24
	v_mov_b32_e32 v1, 0
	s_waitcnt vmcnt(0)
	v_readfirstlane_b32 s12, v0
	s_and_b32 m0, s12, 0xffffff
	global_store_dwordx2 v[2:3], v[0:1], off
	s_sendmsg sendmsg(MSG_INTERRUPT)
.LBB2_1198:
	s_or_b64 exec, exec, s[10:11]
	s_branch .LBB2_1202
.LBB2_1199:                             ;   in Loop: Header=BB2_1202 Depth=1
	s_or_b64 exec, exec, s[10:11]
	v_readfirstlane_b32 s10, v0
	s_cmp_eq_u32 s10, 0
	s_cbranch_scc1 .LBB2_1201
; %bb.1200:                             ;   in Loop: Header=BB2_1202 Depth=1
	s_sleep 1
	s_cbranch_execnz .LBB2_1202
	s_branch .LBB2_1204
.LBB2_1201:
	s_branch .LBB2_1204
.LBB2_1202:                             ; =>This Inner Loop Header: Depth=1
	v_mov_b32_e32 v0, 1
	s_and_saveexec_b64 s[10:11], s[4:5]
	s_cbranch_execz .LBB2_1199
; %bb.1203:                             ;   in Loop: Header=BB2_1202 Depth=1
	global_load_dword v0, v[7:8], off offset:20 glc
	s_waitcnt vmcnt(0)
	buffer_wbinvl1_vol
	v_and_b32_e32 v0, 1, v0
	s_branch .LBB2_1199
.LBB2_1204:
	global_load_dwordx2 v[0:1], v[9:10], off
	s_and_saveexec_b64 s[10:11], s[4:5]
	s_cbranch_execz .LBB2_1207
; %bb.1205:
	v_mov_b32_e32 v8, 0
	global_load_dwordx2 v[2:3], v8, s[34:35] offset:40
	global_load_dwordx2 v[11:12], v8, s[34:35] offset:24 glc
	global_load_dwordx2 v[4:5], v8, s[34:35]
	s_waitcnt vmcnt(2)
	v_readfirstlane_b32 s12, v2
	v_readfirstlane_b32 s13, v3
	s_add_u32 s14, s12, 1
	s_addc_u32 s15, s13, 0
	s_add_u32 s4, s14, s8
	s_addc_u32 s5, s15, s9
	s_cmp_eq_u64 s[4:5], 0
	s_cselect_b32 s5, s15, s5
	s_cselect_b32 s4, s14, s4
	s_and_b64 s[8:9], s[4:5], s[12:13]
	s_mul_i32 s9, s9, 24
	s_mul_hi_u32 s12, s8, 24
	s_mul_i32 s8, s8, 24
	s_add_i32 s9, s12, s9
	v_mov_b32_e32 v2, s9
	s_waitcnt vmcnt(0)
	v_add_co_u32_e32 v6, vcc, s8, v4
	v_addc_co_u32_e32 v7, vcc, v5, v2, vcc
	v_mov_b32_e32 v9, s4
	global_store_dwordx2 v[6:7], v[11:12], off
	v_mov_b32_e32 v10, s5
	s_waitcnt vmcnt(0)
	global_atomic_cmpswap_x2 v[4:5], v8, v[9:12], s[34:35] offset:24 glc
	s_mov_b64 s[8:9], 0
	s_waitcnt vmcnt(0)
	v_cmp_ne_u64_e32 vcc, v[4:5], v[11:12]
	s_and_b64 exec, exec, vcc
	s_cbranch_execz .LBB2_1207
.LBB2_1206:                             ; =>This Inner Loop Header: Depth=1
	s_sleep 1
	global_store_dwordx2 v[6:7], v[4:5], off
	v_mov_b32_e32 v2, s4
	v_mov_b32_e32 v3, s5
	s_waitcnt vmcnt(0)
	global_atomic_cmpswap_x2 v[2:3], v8, v[2:5], s[34:35] offset:24 glc
	s_waitcnt vmcnt(0)
	v_cmp_eq_u64_e32 vcc, v[2:3], v[4:5]
	v_mov_b32_e32 v5, v3
	s_or_b64 s[8:9], vcc, s[8:9]
	v_mov_b32_e32 v4, v2
	s_andn2_b64 exec, exec, s[8:9]
	s_cbranch_execnz .LBB2_1206
.LBB2_1207:
	s_or_b64 exec, exec, s[10:11]
	s_getpc_b64 s[8:9]
	s_add_u32 s8, s8, .str.8@rel32@lo+4
	s_addc_u32 s9, s9, .str.8@rel32@hi+12
	s_cmp_lg_u64 s[8:9], 0
	s_cbranch_scc0 .LBB2_1293
; %bb.1208:
	s_waitcnt vmcnt(0)
	v_and_b32_e32 v6, -3, v0
	v_mov_b32_e32 v7, v1
	s_mov_b64 s[10:11], 11
	v_mov_b32_e32 v26, 0
	v_mov_b32_e32 v4, 2
	;; [unrolled: 1-line block ×3, first 2 shown]
	s_branch .LBB2_1210
.LBB2_1209:                             ;   in Loop: Header=BB2_1210 Depth=1
	s_or_b64 exec, exec, s[16:17]
	s_sub_u32 s10, s10, s12
	s_subb_u32 s11, s11, s13
	s_add_u32 s8, s8, s12
	s_addc_u32 s9, s9, s13
	s_cmp_lg_u64 s[10:11], 0
	s_cbranch_scc0 .LBB2_1292
.LBB2_1210:                             ; =>This Loop Header: Depth=1
                                        ;     Child Loop BB2_1213 Depth 2
                                        ;     Child Loop BB2_1221 Depth 2
	;; [unrolled: 1-line block ×11, first 2 shown]
	v_cmp_lt_u64_e64 s[4:5], s[10:11], 56
	v_cmp_gt_u64_e64 s[14:15], s[10:11], 7
	s_and_b64 s[4:5], s[4:5], exec
	s_cselect_b32 s13, s11, 0
	s_cselect_b32 s12, s10, 56
	s_add_u32 s4, s8, 8
	s_addc_u32 s5, s9, 0
	s_and_b64 vcc, exec, s[14:15]
	s_cbranch_vccnz .LBB2_1214
; %bb.1211:                             ;   in Loop: Header=BB2_1210 Depth=1
	s_cmp_eq_u64 s[10:11], 0
	s_cbranch_scc1 .LBB2_1215
; %bb.1212:                             ;   in Loop: Header=BB2_1210 Depth=1
	s_waitcnt vmcnt(0)
	v_mov_b32_e32 v8, 0
	s_lshl_b64 s[4:5], s[12:13], 3
	s_mov_b64 s[14:15], 0
	v_mov_b32_e32 v9, 0
	s_mov_b64 s[16:17], s[8:9]
.LBB2_1213:                             ;   Parent Loop BB2_1210 Depth=1
                                        ; =>  This Inner Loop Header: Depth=2
	global_load_ubyte v2, v26, s[16:17]
	s_waitcnt vmcnt(0)
	v_and_b32_e32 v25, 0xffff, v2
	v_lshlrev_b64 v[2:3], s14, v[25:26]
	s_add_u32 s14, s14, 8
	s_addc_u32 s15, s15, 0
	s_add_u32 s16, s16, 1
	s_addc_u32 s17, s17, 0
	v_or_b32_e32 v8, v2, v8
	s_cmp_lg_u32 s4, s14
	v_or_b32_e32 v9, v3, v9
	s_cbranch_scc1 .LBB2_1213
	s_branch .LBB2_1216
.LBB2_1214:                             ;   in Loop: Header=BB2_1210 Depth=1
	s_mov_b32 s18, 0
	s_branch .LBB2_1217
.LBB2_1215:                             ;   in Loop: Header=BB2_1210 Depth=1
	s_waitcnt vmcnt(0)
	v_mov_b32_e32 v8, 0
	v_mov_b32_e32 v9, 0
.LBB2_1216:                             ;   in Loop: Header=BB2_1210 Depth=1
	s_mov_b64 s[4:5], s[8:9]
	s_mov_b32 s18, 0
	s_cbranch_execnz .LBB2_1218
.LBB2_1217:                             ;   in Loop: Header=BB2_1210 Depth=1
	global_load_dwordx2 v[8:9], v26, s[8:9]
	s_add_i32 s18, s12, -8
.LBB2_1218:                             ;   in Loop: Header=BB2_1210 Depth=1
	s_add_u32 s14, s4, 8
	s_addc_u32 s15, s5, 0
	s_cmp_gt_u32 s18, 7
	s_cbranch_scc1 .LBB2_1222
; %bb.1219:                             ;   in Loop: Header=BB2_1210 Depth=1
	s_cmp_eq_u32 s18, 0
	s_cbranch_scc1 .LBB2_1223
; %bb.1220:                             ;   in Loop: Header=BB2_1210 Depth=1
	v_mov_b32_e32 v10, 0
	s_mov_b64 s[14:15], 0
	v_mov_b32_e32 v11, 0
	s_mov_b64 s[16:17], 0
.LBB2_1221:                             ;   Parent Loop BB2_1210 Depth=1
                                        ; =>  This Inner Loop Header: Depth=2
	s_add_u32 s20, s4, s16
	s_addc_u32 s21, s5, s17
	global_load_ubyte v2, v26, s[20:21]
	s_add_u32 s16, s16, 1
	s_addc_u32 s17, s17, 0
	s_waitcnt vmcnt(0)
	v_and_b32_e32 v25, 0xffff, v2
	v_lshlrev_b64 v[2:3], s14, v[25:26]
	s_add_u32 s14, s14, 8
	s_addc_u32 s15, s15, 0
	v_or_b32_e32 v10, v2, v10
	s_cmp_lg_u32 s18, s16
	v_or_b32_e32 v11, v3, v11
	s_cbranch_scc1 .LBB2_1221
	s_branch .LBB2_1224
.LBB2_1222:                             ;   in Loop: Header=BB2_1210 Depth=1
                                        ; implicit-def: $vgpr10_vgpr11
	s_mov_b32 s19, 0
	s_branch .LBB2_1225
.LBB2_1223:                             ;   in Loop: Header=BB2_1210 Depth=1
	v_mov_b32_e32 v10, 0
	v_mov_b32_e32 v11, 0
.LBB2_1224:                             ;   in Loop: Header=BB2_1210 Depth=1
	s_mov_b64 s[14:15], s[4:5]
	s_mov_b32 s19, 0
	s_cbranch_execnz .LBB2_1226
.LBB2_1225:                             ;   in Loop: Header=BB2_1210 Depth=1
	global_load_dwordx2 v[10:11], v26, s[4:5]
	s_add_i32 s19, s18, -8
.LBB2_1226:                             ;   in Loop: Header=BB2_1210 Depth=1
	s_add_u32 s4, s14, 8
	s_addc_u32 s5, s15, 0
	s_cmp_gt_u32 s19, 7
	s_cbranch_scc1 .LBB2_1230
; %bb.1227:                             ;   in Loop: Header=BB2_1210 Depth=1
	s_cmp_eq_u32 s19, 0
	s_cbranch_scc1 .LBB2_1231
; %bb.1228:                             ;   in Loop: Header=BB2_1210 Depth=1
	v_mov_b32_e32 v12, 0
	s_mov_b64 s[4:5], 0
	v_mov_b32_e32 v13, 0
	s_mov_b64 s[16:17], 0
.LBB2_1229:                             ;   Parent Loop BB2_1210 Depth=1
                                        ; =>  This Inner Loop Header: Depth=2
	s_add_u32 s20, s14, s16
	s_addc_u32 s21, s15, s17
	global_load_ubyte v2, v26, s[20:21]
	s_add_u32 s16, s16, 1
	s_addc_u32 s17, s17, 0
	s_waitcnt vmcnt(0)
	v_and_b32_e32 v25, 0xffff, v2
	v_lshlrev_b64 v[2:3], s4, v[25:26]
	s_add_u32 s4, s4, 8
	s_addc_u32 s5, s5, 0
	v_or_b32_e32 v12, v2, v12
	s_cmp_lg_u32 s19, s16
	v_or_b32_e32 v13, v3, v13
	s_cbranch_scc1 .LBB2_1229
	s_branch .LBB2_1232
.LBB2_1230:                             ;   in Loop: Header=BB2_1210 Depth=1
	s_mov_b32 s18, 0
	s_branch .LBB2_1233
.LBB2_1231:                             ;   in Loop: Header=BB2_1210 Depth=1
	v_mov_b32_e32 v12, 0
	v_mov_b32_e32 v13, 0
.LBB2_1232:                             ;   in Loop: Header=BB2_1210 Depth=1
	s_mov_b64 s[4:5], s[14:15]
	s_mov_b32 s18, 0
	s_cbranch_execnz .LBB2_1234
.LBB2_1233:                             ;   in Loop: Header=BB2_1210 Depth=1
	global_load_dwordx2 v[12:13], v26, s[14:15]
	s_add_i32 s18, s19, -8
.LBB2_1234:                             ;   in Loop: Header=BB2_1210 Depth=1
	s_add_u32 s14, s4, 8
	s_addc_u32 s15, s5, 0
	s_cmp_gt_u32 s18, 7
	s_cbranch_scc1 .LBB2_1238
; %bb.1235:                             ;   in Loop: Header=BB2_1210 Depth=1
	s_cmp_eq_u32 s18, 0
	s_cbranch_scc1 .LBB2_1239
; %bb.1236:                             ;   in Loop: Header=BB2_1210 Depth=1
	v_mov_b32_e32 v14, 0
	s_mov_b64 s[14:15], 0
	v_mov_b32_e32 v15, 0
	s_mov_b64 s[16:17], 0
.LBB2_1237:                             ;   Parent Loop BB2_1210 Depth=1
                                        ; =>  This Inner Loop Header: Depth=2
	s_add_u32 s20, s4, s16
	s_addc_u32 s21, s5, s17
	global_load_ubyte v2, v26, s[20:21]
	s_add_u32 s16, s16, 1
	s_addc_u32 s17, s17, 0
	s_waitcnt vmcnt(0)
	v_and_b32_e32 v25, 0xffff, v2
	v_lshlrev_b64 v[2:3], s14, v[25:26]
	s_add_u32 s14, s14, 8
	s_addc_u32 s15, s15, 0
	v_or_b32_e32 v14, v2, v14
	s_cmp_lg_u32 s18, s16
	v_or_b32_e32 v15, v3, v15
	s_cbranch_scc1 .LBB2_1237
	s_branch .LBB2_1240
.LBB2_1238:                             ;   in Loop: Header=BB2_1210 Depth=1
                                        ; implicit-def: $vgpr14_vgpr15
	s_mov_b32 s19, 0
	s_branch .LBB2_1241
.LBB2_1239:                             ;   in Loop: Header=BB2_1210 Depth=1
	v_mov_b32_e32 v14, 0
	v_mov_b32_e32 v15, 0
.LBB2_1240:                             ;   in Loop: Header=BB2_1210 Depth=1
	s_mov_b64 s[14:15], s[4:5]
	s_mov_b32 s19, 0
	s_cbranch_execnz .LBB2_1242
.LBB2_1241:                             ;   in Loop: Header=BB2_1210 Depth=1
	global_load_dwordx2 v[14:15], v26, s[4:5]
	s_add_i32 s19, s18, -8
.LBB2_1242:                             ;   in Loop: Header=BB2_1210 Depth=1
	s_add_u32 s4, s14, 8
	s_addc_u32 s5, s15, 0
	s_cmp_gt_u32 s19, 7
	s_cbranch_scc1 .LBB2_1246
; %bb.1243:                             ;   in Loop: Header=BB2_1210 Depth=1
	s_cmp_eq_u32 s19, 0
	s_cbranch_scc1 .LBB2_1247
; %bb.1244:                             ;   in Loop: Header=BB2_1210 Depth=1
	v_mov_b32_e32 v16, 0
	s_mov_b64 s[4:5], 0
	v_mov_b32_e32 v17, 0
	s_mov_b64 s[16:17], 0
.LBB2_1245:                             ;   Parent Loop BB2_1210 Depth=1
                                        ; =>  This Inner Loop Header: Depth=2
	s_add_u32 s20, s14, s16
	s_addc_u32 s21, s15, s17
	global_load_ubyte v2, v26, s[20:21]
	s_add_u32 s16, s16, 1
	s_addc_u32 s17, s17, 0
	s_waitcnt vmcnt(0)
	v_and_b32_e32 v25, 0xffff, v2
	v_lshlrev_b64 v[2:3], s4, v[25:26]
	s_add_u32 s4, s4, 8
	s_addc_u32 s5, s5, 0
	v_or_b32_e32 v16, v2, v16
	s_cmp_lg_u32 s19, s16
	v_or_b32_e32 v17, v3, v17
	s_cbranch_scc1 .LBB2_1245
	s_branch .LBB2_1248
.LBB2_1246:                             ;   in Loop: Header=BB2_1210 Depth=1
	s_mov_b32 s18, 0
	s_branch .LBB2_1249
.LBB2_1247:                             ;   in Loop: Header=BB2_1210 Depth=1
	v_mov_b32_e32 v16, 0
	v_mov_b32_e32 v17, 0
.LBB2_1248:                             ;   in Loop: Header=BB2_1210 Depth=1
	s_mov_b64 s[4:5], s[14:15]
	s_mov_b32 s18, 0
	s_cbranch_execnz .LBB2_1250
.LBB2_1249:                             ;   in Loop: Header=BB2_1210 Depth=1
	global_load_dwordx2 v[16:17], v26, s[14:15]
	s_add_i32 s18, s19, -8
.LBB2_1250:                             ;   in Loop: Header=BB2_1210 Depth=1
	s_add_u32 s14, s4, 8
	s_addc_u32 s15, s5, 0
	s_cmp_gt_u32 s18, 7
	s_cbranch_scc1 .LBB2_1254
; %bb.1251:                             ;   in Loop: Header=BB2_1210 Depth=1
	s_cmp_eq_u32 s18, 0
	s_cbranch_scc1 .LBB2_1255
; %bb.1252:                             ;   in Loop: Header=BB2_1210 Depth=1
	v_mov_b32_e32 v18, 0
	s_mov_b64 s[14:15], 0
	v_mov_b32_e32 v19, 0
	s_mov_b64 s[16:17], 0
.LBB2_1253:                             ;   Parent Loop BB2_1210 Depth=1
                                        ; =>  This Inner Loop Header: Depth=2
	s_add_u32 s20, s4, s16
	s_addc_u32 s21, s5, s17
	global_load_ubyte v2, v26, s[20:21]
	s_add_u32 s16, s16, 1
	s_addc_u32 s17, s17, 0
	s_waitcnt vmcnt(0)
	v_and_b32_e32 v25, 0xffff, v2
	v_lshlrev_b64 v[2:3], s14, v[25:26]
	s_add_u32 s14, s14, 8
	s_addc_u32 s15, s15, 0
	v_or_b32_e32 v18, v2, v18
	s_cmp_lg_u32 s18, s16
	v_or_b32_e32 v19, v3, v19
	s_cbranch_scc1 .LBB2_1253
	s_branch .LBB2_1256
.LBB2_1254:                             ;   in Loop: Header=BB2_1210 Depth=1
                                        ; implicit-def: $vgpr18_vgpr19
	s_mov_b32 s19, 0
	s_branch .LBB2_1257
.LBB2_1255:                             ;   in Loop: Header=BB2_1210 Depth=1
	v_mov_b32_e32 v18, 0
	v_mov_b32_e32 v19, 0
.LBB2_1256:                             ;   in Loop: Header=BB2_1210 Depth=1
	s_mov_b64 s[14:15], s[4:5]
	s_mov_b32 s19, 0
	s_cbranch_execnz .LBB2_1258
.LBB2_1257:                             ;   in Loop: Header=BB2_1210 Depth=1
	global_load_dwordx2 v[18:19], v26, s[4:5]
	s_add_i32 s19, s18, -8
.LBB2_1258:                             ;   in Loop: Header=BB2_1210 Depth=1
	s_cmp_gt_u32 s19, 7
	s_cbranch_scc1 .LBB2_1262
; %bb.1259:                             ;   in Loop: Header=BB2_1210 Depth=1
	s_cmp_eq_u32 s19, 0
	s_cbranch_scc1 .LBB2_1263
; %bb.1260:                             ;   in Loop: Header=BB2_1210 Depth=1
	v_mov_b32_e32 v20, 0
	s_mov_b64 s[4:5], 0
	v_mov_b32_e32 v21, 0
	s_mov_b64 s[16:17], s[14:15]
.LBB2_1261:                             ;   Parent Loop BB2_1210 Depth=1
                                        ; =>  This Inner Loop Header: Depth=2
	global_load_ubyte v2, v26, s[16:17]
	s_add_i32 s19, s19, -1
	s_waitcnt vmcnt(0)
	v_and_b32_e32 v25, 0xffff, v2
	v_lshlrev_b64 v[2:3], s4, v[25:26]
	s_add_u32 s4, s4, 8
	s_addc_u32 s5, s5, 0
	s_add_u32 s16, s16, 1
	s_addc_u32 s17, s17, 0
	v_or_b32_e32 v20, v2, v20
	s_cmp_lg_u32 s19, 0
	v_or_b32_e32 v21, v3, v21
	s_cbranch_scc1 .LBB2_1261
	s_branch .LBB2_1264
.LBB2_1262:                             ;   in Loop: Header=BB2_1210 Depth=1
	s_branch .LBB2_1265
.LBB2_1263:                             ;   in Loop: Header=BB2_1210 Depth=1
	v_mov_b32_e32 v20, 0
	v_mov_b32_e32 v21, 0
.LBB2_1264:                             ;   in Loop: Header=BB2_1210 Depth=1
	s_cbranch_execnz .LBB2_1266
.LBB2_1265:                             ;   in Loop: Header=BB2_1210 Depth=1
	global_load_dwordx2 v[20:21], v26, s[14:15]
.LBB2_1266:                             ;   in Loop: Header=BB2_1210 Depth=1
	v_readfirstlane_b32 s4, v38
	v_mov_b32_e32 v2, 0
	v_mov_b32_e32 v3, 0
	v_cmp_eq_u32_e64 s[4:5], s4, v38
	s_and_saveexec_b64 s[14:15], s[4:5]
	s_cbranch_execz .LBB2_1272
; %bb.1267:                             ;   in Loop: Header=BB2_1210 Depth=1
	global_load_dwordx2 v[24:25], v26, s[34:35] offset:24 glc
	s_waitcnt vmcnt(0)
	buffer_wbinvl1_vol
	global_load_dwordx2 v[2:3], v26, s[34:35] offset:40
	global_load_dwordx2 v[22:23], v26, s[34:35]
	s_waitcnt vmcnt(1)
	v_and_b32_e32 v2, v2, v24
	v_and_b32_e32 v3, v3, v25
	v_mul_lo_u32 v3, v3, 24
	v_mul_hi_u32 v27, v2, 24
	v_mul_lo_u32 v2, v2, 24
	v_add_u32_e32 v3, v27, v3
	s_waitcnt vmcnt(0)
	v_add_co_u32_e32 v2, vcc, v22, v2
	v_addc_co_u32_e32 v3, vcc, v23, v3, vcc
	global_load_dwordx2 v[22:23], v[2:3], off glc
	s_waitcnt vmcnt(0)
	global_atomic_cmpswap_x2 v[2:3], v26, v[22:25], s[34:35] offset:24 glc
	s_waitcnt vmcnt(0)
	buffer_wbinvl1_vol
	v_cmp_ne_u64_e32 vcc, v[2:3], v[24:25]
	s_and_saveexec_b64 s[16:17], vcc
	s_cbranch_execz .LBB2_1271
; %bb.1268:                             ;   in Loop: Header=BB2_1210 Depth=1
	s_mov_b64 s[18:19], 0
.LBB2_1269:                             ;   Parent Loop BB2_1210 Depth=1
                                        ; =>  This Inner Loop Header: Depth=2
	s_sleep 1
	global_load_dwordx2 v[22:23], v26, s[34:35] offset:40
	global_load_dwordx2 v[27:28], v26, s[34:35]
	v_mov_b32_e32 v25, v3
	v_mov_b32_e32 v24, v2
	s_waitcnt vmcnt(1)
	v_and_b32_e32 v2, v22, v24
	s_waitcnt vmcnt(0)
	v_mad_u64_u32 v[2:3], s[20:21], v2, 24, v[27:28]
	v_and_b32_e32 v22, v23, v25
	v_mad_u64_u32 v[22:23], s[20:21], v22, 24, v[3:4]
	v_mov_b32_e32 v3, v22
	global_load_dwordx2 v[22:23], v[2:3], off glc
	s_waitcnt vmcnt(0)
	global_atomic_cmpswap_x2 v[2:3], v26, v[22:25], s[34:35] offset:24 glc
	s_waitcnt vmcnt(0)
	buffer_wbinvl1_vol
	v_cmp_eq_u64_e32 vcc, v[2:3], v[24:25]
	s_or_b64 s[18:19], vcc, s[18:19]
	s_andn2_b64 exec, exec, s[18:19]
	s_cbranch_execnz .LBB2_1269
; %bb.1270:                             ;   in Loop: Header=BB2_1210 Depth=1
	s_or_b64 exec, exec, s[18:19]
.LBB2_1271:                             ;   in Loop: Header=BB2_1210 Depth=1
	s_or_b64 exec, exec, s[16:17]
.LBB2_1272:                             ;   in Loop: Header=BB2_1210 Depth=1
	s_or_b64 exec, exec, s[14:15]
	global_load_dwordx2 v[27:28], v26, s[34:35] offset:40
	global_load_dwordx4 v[22:25], v26, s[34:35]
	v_readfirstlane_b32 s15, v3
	v_readfirstlane_b32 s14, v2
	s_mov_b64 s[16:17], exec
	s_waitcnt vmcnt(1)
	v_readfirstlane_b32 s18, v27
	v_readfirstlane_b32 s19, v28
	s_and_b64 s[18:19], s[18:19], s[14:15]
	s_mul_i32 s20, s19, 24
	s_mul_hi_u32 s21, s18, 24
	s_mul_i32 s22, s18, 24
	s_add_i32 s20, s21, s20
	v_mov_b32_e32 v2, s20
	s_waitcnt vmcnt(0)
	v_add_co_u32_e32 v27, vcc, s22, v22
	v_addc_co_u32_e32 v28, vcc, v23, v2, vcc
	s_and_saveexec_b64 s[20:21], s[4:5]
	s_cbranch_execz .LBB2_1274
; %bb.1273:                             ;   in Loop: Header=BB2_1210 Depth=1
	v_mov_b32_e32 v2, s16
	v_mov_b32_e32 v3, s17
	global_store_dwordx4 v[27:28], v[2:5], off offset:8
.LBB2_1274:                             ;   in Loop: Header=BB2_1210 Depth=1
	s_or_b64 exec, exec, s[20:21]
	s_lshl_b64 s[16:17], s[18:19], 12
	v_cmp_gt_u64_e64 s[18:19], s[10:11], 56
	v_mov_b32_e32 v2, s17
	v_add_co_u32_e32 v24, vcc, s16, v24
	s_and_b64 s[16:17], s[18:19], exec
	s_cselect_b32 s16, 0, 2
	s_lshl_b32 s17, s12, 2
	v_addc_co_u32_e32 v29, vcc, v25, v2, vcc
	s_add_i32 s17, s17, 28
	v_and_b32_e32 v2, 0xffffff1f, v6
	s_and_b32 s17, s17, 0x1e0
	v_or_b32_e32 v2, s16, v2
	v_or_b32_e32 v6, s17, v2
	v_readfirstlane_b32 s16, v24
	v_readfirstlane_b32 s17, v29
	s_nop 4
	global_store_dwordx4 v37, v[6:9], s[16:17]
	global_store_dwordx4 v37, v[10:13], s[16:17] offset:16
	global_store_dwordx4 v37, v[14:17], s[16:17] offset:32
	;; [unrolled: 1-line block ×3, first 2 shown]
	s_and_saveexec_b64 s[16:17], s[4:5]
	s_cbranch_execz .LBB2_1282
; %bb.1275:                             ;   in Loop: Header=BB2_1210 Depth=1
	global_load_dwordx2 v[10:11], v26, s[34:35] offset:32 glc
	global_load_dwordx2 v[2:3], v26, s[34:35] offset:40
	v_mov_b32_e32 v8, s14
	v_mov_b32_e32 v9, s15
	s_waitcnt vmcnt(0)
	v_readfirstlane_b32 s18, v2
	v_readfirstlane_b32 s19, v3
	s_and_b64 s[18:19], s[18:19], s[14:15]
	s_mul_i32 s19, s19, 24
	s_mul_hi_u32 s20, s18, 24
	s_mul_i32 s18, s18, 24
	s_add_i32 s19, s20, s19
	v_mov_b32_e32 v3, s19
	v_add_co_u32_e32 v2, vcc, s18, v22
	v_addc_co_u32_e32 v3, vcc, v23, v3, vcc
	global_store_dwordx2 v[2:3], v[10:11], off
	s_waitcnt vmcnt(0)
	global_atomic_cmpswap_x2 v[8:9], v26, v[8:11], s[34:35] offset:32 glc
	s_waitcnt vmcnt(0)
	v_cmp_ne_u64_e32 vcc, v[8:9], v[10:11]
	s_and_saveexec_b64 s[18:19], vcc
	s_cbranch_execz .LBB2_1278
; %bb.1276:                             ;   in Loop: Header=BB2_1210 Depth=1
	s_mov_b64 s[20:21], 0
.LBB2_1277:                             ;   Parent Loop BB2_1210 Depth=1
                                        ; =>  This Inner Loop Header: Depth=2
	s_sleep 1
	global_store_dwordx2 v[2:3], v[8:9], off
	v_mov_b32_e32 v6, s14
	v_mov_b32_e32 v7, s15
	s_waitcnt vmcnt(0)
	global_atomic_cmpswap_x2 v[6:7], v26, v[6:9], s[34:35] offset:32 glc
	s_waitcnt vmcnt(0)
	v_cmp_eq_u64_e32 vcc, v[6:7], v[8:9]
	v_mov_b32_e32 v9, v7
	s_or_b64 s[20:21], vcc, s[20:21]
	v_mov_b32_e32 v8, v6
	s_andn2_b64 exec, exec, s[20:21]
	s_cbranch_execnz .LBB2_1277
.LBB2_1278:                             ;   in Loop: Header=BB2_1210 Depth=1
	s_or_b64 exec, exec, s[18:19]
	global_load_dwordx2 v[2:3], v26, s[34:35] offset:16
	s_mov_b64 s[20:21], exec
	v_mbcnt_lo_u32_b32 v6, s20, 0
	v_mbcnt_hi_u32_b32 v6, s21, v6
	v_cmp_eq_u32_e32 vcc, 0, v6
	s_and_saveexec_b64 s[18:19], vcc
	s_cbranch_execz .LBB2_1280
; %bb.1279:                             ;   in Loop: Header=BB2_1210 Depth=1
	s_bcnt1_i32_b64 s20, s[20:21]
	v_mov_b32_e32 v25, s20
	s_waitcnt vmcnt(0)
	global_atomic_add_x2 v[2:3], v[25:26], off offset:8
.LBB2_1280:                             ;   in Loop: Header=BB2_1210 Depth=1
	s_or_b64 exec, exec, s[18:19]
	s_waitcnt vmcnt(0)
	global_load_dwordx2 v[6:7], v[2:3], off offset:16
	s_waitcnt vmcnt(0)
	v_cmp_eq_u64_e32 vcc, 0, v[6:7]
	s_cbranch_vccnz .LBB2_1282
; %bb.1281:                             ;   in Loop: Header=BB2_1210 Depth=1
	global_load_dword v25, v[2:3], off offset:24
	s_waitcnt vmcnt(0)
	v_readfirstlane_b32 s18, v25
	s_and_b32 m0, s18, 0xffffff
	global_store_dwordx2 v[6:7], v[25:26], off
	s_sendmsg sendmsg(MSG_INTERRUPT)
.LBB2_1282:                             ;   in Loop: Header=BB2_1210 Depth=1
	s_or_b64 exec, exec, s[16:17]
	v_add_co_u32_e32 v2, vcc, v24, v37
	v_addc_co_u32_e32 v3, vcc, 0, v29, vcc
	s_branch .LBB2_1286
.LBB2_1283:                             ;   in Loop: Header=BB2_1286 Depth=2
	s_or_b64 exec, exec, s[16:17]
	v_readfirstlane_b32 s16, v6
	s_cmp_eq_u32 s16, 0
	s_cbranch_scc1 .LBB2_1285
; %bb.1284:                             ;   in Loop: Header=BB2_1286 Depth=2
	s_sleep 1
	s_cbranch_execnz .LBB2_1286
	s_branch .LBB2_1288
.LBB2_1285:                             ;   in Loop: Header=BB2_1210 Depth=1
	s_branch .LBB2_1288
.LBB2_1286:                             ;   Parent Loop BB2_1210 Depth=1
                                        ; =>  This Inner Loop Header: Depth=2
	v_mov_b32_e32 v6, 1
	s_and_saveexec_b64 s[16:17], s[4:5]
	s_cbranch_execz .LBB2_1283
; %bb.1287:                             ;   in Loop: Header=BB2_1286 Depth=2
	global_load_dword v6, v[27:28], off offset:20 glc
	s_waitcnt vmcnt(0)
	buffer_wbinvl1_vol
	v_and_b32_e32 v6, 1, v6
	s_branch .LBB2_1283
.LBB2_1288:                             ;   in Loop: Header=BB2_1210 Depth=1
	global_load_dwordx4 v[6:9], v[2:3], off
	s_and_saveexec_b64 s[16:17], s[4:5]
	s_cbranch_execz .LBB2_1209
; %bb.1289:                             ;   in Loop: Header=BB2_1210 Depth=1
	global_load_dwordx2 v[2:3], v26, s[34:35] offset:40
	global_load_dwordx2 v[12:13], v26, s[34:35] offset:24 glc
	global_load_dwordx2 v[8:9], v26, s[34:35]
	s_waitcnt vmcnt(2)
	v_readfirstlane_b32 s18, v2
	v_readfirstlane_b32 s19, v3
	s_add_u32 s20, s18, 1
	s_addc_u32 s21, s19, 0
	s_add_u32 s4, s20, s14
	s_addc_u32 s5, s21, s15
	s_cmp_eq_u64 s[4:5], 0
	s_cselect_b32 s5, s21, s5
	s_cselect_b32 s4, s20, s4
	s_and_b64 s[14:15], s[4:5], s[18:19]
	s_mul_i32 s15, s15, 24
	s_mul_hi_u32 s18, s14, 24
	s_mul_i32 s14, s14, 24
	s_add_i32 s15, s18, s15
	v_mov_b32_e32 v3, s15
	s_waitcnt vmcnt(0)
	v_add_co_u32_e32 v2, vcc, s14, v8
	v_addc_co_u32_e32 v3, vcc, v9, v3, vcc
	v_mov_b32_e32 v10, s4
	global_store_dwordx2 v[2:3], v[12:13], off
	v_mov_b32_e32 v11, s5
	s_waitcnt vmcnt(0)
	global_atomic_cmpswap_x2 v[10:11], v26, v[10:13], s[34:35] offset:24 glc
	s_waitcnt vmcnt(0)
	v_cmp_ne_u64_e32 vcc, v[10:11], v[12:13]
	s_and_b64 exec, exec, vcc
	s_cbranch_execz .LBB2_1209
; %bb.1290:                             ;   in Loop: Header=BB2_1210 Depth=1
	s_mov_b64 s[14:15], 0
.LBB2_1291:                             ;   Parent Loop BB2_1210 Depth=1
                                        ; =>  This Inner Loop Header: Depth=2
	s_sleep 1
	global_store_dwordx2 v[2:3], v[10:11], off
	v_mov_b32_e32 v8, s4
	v_mov_b32_e32 v9, s5
	s_waitcnt vmcnt(0)
	global_atomic_cmpswap_x2 v[8:9], v26, v[8:11], s[34:35] offset:24 glc
	s_waitcnt vmcnt(0)
	v_cmp_eq_u64_e32 vcc, v[8:9], v[10:11]
	v_mov_b32_e32 v11, v9
	s_or_b64 s[14:15], vcc, s[14:15]
	v_mov_b32_e32 v10, v8
	s_andn2_b64 exec, exec, s[14:15]
	s_cbranch_execnz .LBB2_1291
	s_branch .LBB2_1209
.LBB2_1292:
	s_branch .LBB2_1320
.LBB2_1293:
	s_cbranch_execz .LBB2_1320
; %bb.1294:
	v_readfirstlane_b32 s4, v38
	s_waitcnt vmcnt(0)
	v_mov_b32_e32 v8, 0
	v_mov_b32_e32 v9, 0
	v_cmp_eq_u32_e64 s[4:5], s4, v38
	s_and_saveexec_b64 s[8:9], s[4:5]
	s_cbranch_execz .LBB2_1300
; %bb.1295:
	v_mov_b32_e32 v2, 0
	global_load_dwordx2 v[5:6], v2, s[34:35] offset:24 glc
	s_waitcnt vmcnt(0)
	buffer_wbinvl1_vol
	global_load_dwordx2 v[3:4], v2, s[34:35] offset:40
	global_load_dwordx2 v[7:8], v2, s[34:35]
	s_waitcnt vmcnt(1)
	v_and_b32_e32 v3, v3, v5
	v_and_b32_e32 v4, v4, v6
	v_mul_lo_u32 v4, v4, 24
	v_mul_hi_u32 v9, v3, 24
	v_mul_lo_u32 v3, v3, 24
	v_add_u32_e32 v4, v9, v4
	s_waitcnt vmcnt(0)
	v_add_co_u32_e32 v3, vcc, v7, v3
	v_addc_co_u32_e32 v4, vcc, v8, v4, vcc
	global_load_dwordx2 v[3:4], v[3:4], off glc
	s_waitcnt vmcnt(0)
	global_atomic_cmpswap_x2 v[8:9], v2, v[3:6], s[34:35] offset:24 glc
	s_waitcnt vmcnt(0)
	buffer_wbinvl1_vol
	v_cmp_ne_u64_e32 vcc, v[8:9], v[5:6]
	s_and_saveexec_b64 s[10:11], vcc
	s_cbranch_execz .LBB2_1299
; %bb.1296:
	s_mov_b64 s[12:13], 0
.LBB2_1297:                             ; =>This Inner Loop Header: Depth=1
	s_sleep 1
	global_load_dwordx2 v[3:4], v2, s[34:35] offset:40
	global_load_dwordx2 v[10:11], v2, s[34:35]
	v_mov_b32_e32 v5, v8
	v_mov_b32_e32 v6, v9
	s_waitcnt vmcnt(1)
	v_and_b32_e32 v3, v3, v5
	s_waitcnt vmcnt(0)
	v_mad_u64_u32 v[7:8], s[14:15], v3, 24, v[10:11]
	v_and_b32_e32 v4, v4, v6
	v_mov_b32_e32 v3, v8
	v_mad_u64_u32 v[3:4], s[14:15], v4, 24, v[3:4]
	v_mov_b32_e32 v8, v3
	global_load_dwordx2 v[3:4], v[7:8], off glc
	s_waitcnt vmcnt(0)
	global_atomic_cmpswap_x2 v[8:9], v2, v[3:6], s[34:35] offset:24 glc
	s_waitcnt vmcnt(0)
	buffer_wbinvl1_vol
	v_cmp_eq_u64_e32 vcc, v[8:9], v[5:6]
	s_or_b64 s[12:13], vcc, s[12:13]
	s_andn2_b64 exec, exec, s[12:13]
	s_cbranch_execnz .LBB2_1297
; %bb.1298:
	s_or_b64 exec, exec, s[12:13]
.LBB2_1299:
	s_or_b64 exec, exec, s[10:11]
.LBB2_1300:
	s_or_b64 exec, exec, s[8:9]
	v_mov_b32_e32 v2, 0
	global_load_dwordx2 v[10:11], v2, s[34:35] offset:40
	global_load_dwordx4 v[4:7], v2, s[34:35]
	v_readfirstlane_b32 s9, v9
	v_readfirstlane_b32 s8, v8
	s_mov_b64 s[10:11], exec
	s_waitcnt vmcnt(1)
	v_readfirstlane_b32 s12, v10
	v_readfirstlane_b32 s13, v11
	s_and_b64 s[12:13], s[12:13], s[8:9]
	s_mul_i32 s14, s13, 24
	s_mul_hi_u32 s15, s12, 24
	s_mul_i32 s16, s12, 24
	s_add_i32 s14, s15, s14
	v_mov_b32_e32 v3, s14
	s_waitcnt vmcnt(0)
	v_add_co_u32_e32 v8, vcc, s16, v4
	v_addc_co_u32_e32 v9, vcc, v5, v3, vcc
	s_and_saveexec_b64 s[14:15], s[4:5]
	s_cbranch_execz .LBB2_1302
; %bb.1301:
	v_mov_b32_e32 v10, s10
	v_mov_b32_e32 v11, s11
	;; [unrolled: 1-line block ×4, first 2 shown]
	global_store_dwordx4 v[8:9], v[10:13], off offset:8
.LBB2_1302:
	s_or_b64 exec, exec, s[14:15]
	s_lshl_b64 s[10:11], s[12:13], 12
	v_mov_b32_e32 v3, s11
	v_add_co_u32_e32 v6, vcc, s10, v6
	v_addc_co_u32_e32 v7, vcc, v7, v3, vcc
	s_movk_i32 s10, 0xff1d
	v_and_or_b32 v0, v0, s10, 34
	s_mov_b32 s12, 0
	v_mov_b32_e32 v3, v2
	v_readfirstlane_b32 s10, v6
	v_readfirstlane_b32 s11, v7
	s_mov_b32 s13, s12
	s_mov_b32 s14, s12
	;; [unrolled: 1-line block ×3, first 2 shown]
	s_nop 1
	global_store_dwordx4 v37, v[0:3], s[10:11]
	s_nop 0
	v_mov_b32_e32 v0, s12
	v_mov_b32_e32 v1, s13
	;; [unrolled: 1-line block ×4, first 2 shown]
	global_store_dwordx4 v37, v[0:3], s[10:11] offset:16
	global_store_dwordx4 v37, v[0:3], s[10:11] offset:32
	;; [unrolled: 1-line block ×3, first 2 shown]
	s_and_saveexec_b64 s[10:11], s[4:5]
	s_cbranch_execz .LBB2_1310
; %bb.1303:
	v_mov_b32_e32 v6, 0
	global_load_dwordx2 v[12:13], v6, s[34:35] offset:32 glc
	global_load_dwordx2 v[0:1], v6, s[34:35] offset:40
	v_mov_b32_e32 v10, s8
	v_mov_b32_e32 v11, s9
	s_waitcnt vmcnt(0)
	v_readfirstlane_b32 s12, v0
	v_readfirstlane_b32 s13, v1
	s_and_b64 s[12:13], s[12:13], s[8:9]
	s_mul_i32 s13, s13, 24
	s_mul_hi_u32 s14, s12, 24
	s_mul_i32 s12, s12, 24
	s_add_i32 s13, s14, s13
	v_mov_b32_e32 v0, s13
	v_add_co_u32_e32 v4, vcc, s12, v4
	v_addc_co_u32_e32 v5, vcc, v5, v0, vcc
	global_store_dwordx2 v[4:5], v[12:13], off
	s_waitcnt vmcnt(0)
	global_atomic_cmpswap_x2 v[2:3], v6, v[10:13], s[34:35] offset:32 glc
	s_waitcnt vmcnt(0)
	v_cmp_ne_u64_e32 vcc, v[2:3], v[12:13]
	s_and_saveexec_b64 s[12:13], vcc
	s_cbranch_execz .LBB2_1306
; %bb.1304:
	s_mov_b64 s[14:15], 0
.LBB2_1305:                             ; =>This Inner Loop Header: Depth=1
	s_sleep 1
	global_store_dwordx2 v[4:5], v[2:3], off
	v_mov_b32_e32 v0, s8
	v_mov_b32_e32 v1, s9
	s_waitcnt vmcnt(0)
	global_atomic_cmpswap_x2 v[0:1], v6, v[0:3], s[34:35] offset:32 glc
	s_waitcnt vmcnt(0)
	v_cmp_eq_u64_e32 vcc, v[0:1], v[2:3]
	v_mov_b32_e32 v3, v1
	s_or_b64 s[14:15], vcc, s[14:15]
	v_mov_b32_e32 v2, v0
	s_andn2_b64 exec, exec, s[14:15]
	s_cbranch_execnz .LBB2_1305
.LBB2_1306:
	s_or_b64 exec, exec, s[12:13]
	v_mov_b32_e32 v3, 0
	global_load_dwordx2 v[0:1], v3, s[34:35] offset:16
	s_mov_b64 s[12:13], exec
	v_mbcnt_lo_u32_b32 v2, s12, 0
	v_mbcnt_hi_u32_b32 v2, s13, v2
	v_cmp_eq_u32_e32 vcc, 0, v2
	s_and_saveexec_b64 s[14:15], vcc
	s_cbranch_execz .LBB2_1308
; %bb.1307:
	s_bcnt1_i32_b64 s12, s[12:13]
	v_mov_b32_e32 v2, s12
	s_waitcnt vmcnt(0)
	global_atomic_add_x2 v[0:1], v[2:3], off offset:8
.LBB2_1308:
	s_or_b64 exec, exec, s[14:15]
	s_waitcnt vmcnt(0)
	global_load_dwordx2 v[2:3], v[0:1], off offset:16
	s_waitcnt vmcnt(0)
	v_cmp_eq_u64_e32 vcc, 0, v[2:3]
	s_cbranch_vccnz .LBB2_1310
; %bb.1309:
	global_load_dword v0, v[0:1], off offset:24
	v_mov_b32_e32 v1, 0
	s_waitcnt vmcnt(0)
	v_readfirstlane_b32 s12, v0
	s_and_b32 m0, s12, 0xffffff
	global_store_dwordx2 v[2:3], v[0:1], off
	s_sendmsg sendmsg(MSG_INTERRUPT)
.LBB2_1310:
	s_or_b64 exec, exec, s[10:11]
	s_branch .LBB2_1314
.LBB2_1311:                             ;   in Loop: Header=BB2_1314 Depth=1
	s_or_b64 exec, exec, s[10:11]
	v_readfirstlane_b32 s10, v0
	s_cmp_eq_u32 s10, 0
	s_cbranch_scc1 .LBB2_1313
; %bb.1312:                             ;   in Loop: Header=BB2_1314 Depth=1
	s_sleep 1
	s_cbranch_execnz .LBB2_1314
	s_branch .LBB2_1316
.LBB2_1313:
	s_branch .LBB2_1316
.LBB2_1314:                             ; =>This Inner Loop Header: Depth=1
	v_mov_b32_e32 v0, 1
	s_and_saveexec_b64 s[10:11], s[4:5]
	s_cbranch_execz .LBB2_1311
; %bb.1315:                             ;   in Loop: Header=BB2_1314 Depth=1
	global_load_dword v0, v[8:9], off offset:20 glc
	s_waitcnt vmcnt(0)
	buffer_wbinvl1_vol
	v_and_b32_e32 v0, 1, v0
	s_branch .LBB2_1311
.LBB2_1316:
	s_and_saveexec_b64 s[10:11], s[4:5]
	s_cbranch_execz .LBB2_1319
; %bb.1317:
	v_mov_b32_e32 v6, 0
	global_load_dwordx2 v[0:1], v6, s[34:35] offset:40
	global_load_dwordx2 v[9:10], v6, s[34:35] offset:24 glc
	global_load_dwordx2 v[2:3], v6, s[34:35]
	s_waitcnt vmcnt(2)
	v_readfirstlane_b32 s12, v0
	v_readfirstlane_b32 s13, v1
	s_add_u32 s14, s12, 1
	s_addc_u32 s15, s13, 0
	s_add_u32 s4, s14, s8
	s_addc_u32 s5, s15, s9
	s_cmp_eq_u64 s[4:5], 0
	s_cselect_b32 s5, s15, s5
	s_cselect_b32 s4, s14, s4
	s_and_b64 s[8:9], s[4:5], s[12:13]
	s_mul_i32 s9, s9, 24
	s_mul_hi_u32 s12, s8, 24
	s_mul_i32 s8, s8, 24
	s_add_i32 s9, s12, s9
	v_mov_b32_e32 v0, s9
	s_waitcnt vmcnt(0)
	v_add_co_u32_e32 v4, vcc, s8, v2
	v_addc_co_u32_e32 v5, vcc, v3, v0, vcc
	v_mov_b32_e32 v7, s4
	global_store_dwordx2 v[4:5], v[9:10], off
	v_mov_b32_e32 v8, s5
	s_waitcnt vmcnt(0)
	global_atomic_cmpswap_x2 v[2:3], v6, v[7:10], s[34:35] offset:24 glc
	s_mov_b64 s[8:9], 0
	s_waitcnt vmcnt(0)
	v_cmp_ne_u64_e32 vcc, v[2:3], v[9:10]
	s_and_b64 exec, exec, vcc
	s_cbranch_execz .LBB2_1319
.LBB2_1318:                             ; =>This Inner Loop Header: Depth=1
	s_sleep 1
	global_store_dwordx2 v[4:5], v[2:3], off
	v_mov_b32_e32 v0, s4
	v_mov_b32_e32 v1, s5
	s_waitcnt vmcnt(0)
	global_atomic_cmpswap_x2 v[0:1], v6, v[0:3], s[34:35] offset:24 glc
	s_waitcnt vmcnt(0)
	v_cmp_eq_u64_e32 vcc, v[0:1], v[2:3]
	v_mov_b32_e32 v3, v1
	s_or_b64 s[8:9], vcc, s[8:9]
	v_mov_b32_e32 v2, v0
	s_andn2_b64 exec, exec, s[8:9]
	s_cbranch_execnz .LBB2_1318
.LBB2_1319:
	s_or_b64 exec, exec, s[10:11]
.LBB2_1320:
	s_cmp_lt_i32 s30, 1
	s_cbranch_scc1 .LBB2_1607
; %bb.1321:
	s_getpc_b64 s[4:5]
	s_add_u32 s4, s4, .str.5@rel32@lo+4
	s_addc_u32 s5, s5, .str.5@rel32@hi+12
	s_mov_b32 s13, 0
	s_cmp_lg_u64 s[4:5], 0
	s_cselect_b64 s[14:15], -1, 0
	v_mov_b32_e32 v2, 0
	s_mov_b32 s8, s13
	s_mov_b32 s9, s13
	;; [unrolled: 1-line block ×4, first 2 shown]
	s_movk_i32 s29, 0xff1f
	s_movk_i32 s31, 0xff1d
	v_mov_b32_e32 v5, 2
	s_waitcnt vmcnt(0)
	v_mov_b32_e32 v6, 1
	v_mov_b32_e32 v0, 33
	s_mov_b32 s12, s13
	s_branch .LBB2_1323
.LBB2_1322:                             ;   in Loop: Header=BB2_1323 Depth=1
	s_or_b64 exec, exec, s[18:19]
	s_add_i32 s12, s12, 1
	s_cmp_eq_u32 s12, s30
	s_cbranch_scc1 .LBB2_1607
.LBB2_1323:                             ; =>This Loop Header: Depth=1
                                        ;     Child Loop BB2_1326 Depth 2
                                        ;     Child Loop BB2_1334 Depth 2
	;; [unrolled: 1-line block ×9, first 2 shown]
                                        ;       Child Loop BB2_1355 Depth 3
                                        ;       Child Loop BB2_1363 Depth 3
	;; [unrolled: 1-line block ×11, first 2 shown]
                                        ;     Child Loop BB2_1465 Depth 2
                                        ;     Child Loop BB2_1557 Depth 2
	;; [unrolled: 1-line block ×6, first 2 shown]
                                        ;       Child Loop BB2_1473 Depth 3
                                        ;       Child Loop BB2_1481 Depth 3
	;; [unrolled: 1-line block ×11, first 2 shown]
                                        ;     Child Loop BB2_1584 Depth 2
                                        ;     Child Loop BB2_1592 Depth 2
	;; [unrolled: 1-line block ×4, first 2 shown]
	s_lshl_b64 s[4:5], s[12:13], 2
	s_add_u32 s4, s6, s4
	s_addc_u32 s5, s7, s5
	global_load_dword v1, v2, s[4:5]
	v_readfirstlane_b32 s4, v38
	v_mov_b32_e32 v3, 0
	v_mov_b32_e32 v4, 0
	v_cmp_eq_u32_e64 s[4:5], s4, v38
	s_waitcnt vmcnt(0)
	v_readfirstlane_b32 s33, v1
	s_and_saveexec_b64 s[16:17], s[4:5]
	s_cbranch_execz .LBB2_1329
; %bb.1324:                             ;   in Loop: Header=BB2_1323 Depth=1
	global_load_dwordx2 v[9:10], v2, s[34:35] offset:24 glc
	s_waitcnt vmcnt(0)
	buffer_wbinvl1_vol
	global_load_dwordx2 v[3:4], v2, s[34:35] offset:40
	global_load_dwordx2 v[7:8], v2, s[34:35]
	s_waitcnt vmcnt(1)
	v_and_b32_e32 v1, v3, v9
	v_and_b32_e32 v3, v4, v10
	v_mul_lo_u32 v3, v3, 24
	v_mul_hi_u32 v4, v1, 24
	v_mul_lo_u32 v1, v1, 24
	v_add_u32_e32 v4, v4, v3
	s_waitcnt vmcnt(0)
	v_add_co_u32_e32 v3, vcc, v7, v1
	v_addc_co_u32_e32 v4, vcc, v8, v4, vcc
	global_load_dwordx2 v[7:8], v[3:4], off glc
	s_waitcnt vmcnt(0)
	global_atomic_cmpswap_x2 v[3:4], v2, v[7:10], s[34:35] offset:24 glc
	s_waitcnt vmcnt(0)
	buffer_wbinvl1_vol
	v_cmp_ne_u64_e32 vcc, v[3:4], v[9:10]
	s_and_saveexec_b64 s[18:19], vcc
	s_cbranch_execz .LBB2_1328
; %bb.1325:                             ;   in Loop: Header=BB2_1323 Depth=1
	s_mov_b64 s[20:21], 0
.LBB2_1326:                             ;   Parent Loop BB2_1323 Depth=1
                                        ; =>  This Inner Loop Header: Depth=2
	s_sleep 1
	global_load_dwordx2 v[7:8], v2, s[34:35] offset:40
	global_load_dwordx2 v[11:12], v2, s[34:35]
	v_mov_b32_e32 v10, v4
	v_mov_b32_e32 v9, v3
	s_waitcnt vmcnt(1)
	v_and_b32_e32 v1, v7, v9
	s_waitcnt vmcnt(0)
	v_mad_u64_u32 v[3:4], s[22:23], v1, 24, v[11:12]
	v_and_b32_e32 v7, v8, v10
	v_mov_b32_e32 v1, v4
	v_mad_u64_u32 v[7:8], s[22:23], v7, 24, v[1:2]
	v_mov_b32_e32 v4, v7
	global_load_dwordx2 v[7:8], v[3:4], off glc
	s_waitcnt vmcnt(0)
	global_atomic_cmpswap_x2 v[3:4], v2, v[7:10], s[34:35] offset:24 glc
	s_waitcnt vmcnt(0)
	buffer_wbinvl1_vol
	v_cmp_eq_u64_e32 vcc, v[3:4], v[9:10]
	s_or_b64 s[20:21], vcc, s[20:21]
	s_andn2_b64 exec, exec, s[20:21]
	s_cbranch_execnz .LBB2_1326
; %bb.1327:                             ;   in Loop: Header=BB2_1323 Depth=1
	s_or_b64 exec, exec, s[20:21]
.LBB2_1328:                             ;   in Loop: Header=BB2_1323 Depth=1
	s_or_b64 exec, exec, s[18:19]
.LBB2_1329:                             ;   in Loop: Header=BB2_1323 Depth=1
	s_or_b64 exec, exec, s[16:17]
	global_load_dwordx2 v[11:12], v2, s[34:35] offset:40
	global_load_dwordx4 v[7:10], v2, s[34:35]
	v_readfirstlane_b32 s17, v4
	v_readfirstlane_b32 s16, v3
	s_mov_b64 s[18:19], exec
	s_waitcnt vmcnt(1)
	v_readfirstlane_b32 s20, v11
	v_readfirstlane_b32 s21, v12
	s_and_b64 s[20:21], s[20:21], s[16:17]
	s_mul_i32 s22, s21, 24
	s_mul_hi_u32 s23, s20, 24
	s_mul_i32 s24, s20, 24
	s_add_i32 s22, s23, s22
	v_mov_b32_e32 v1, s22
	s_waitcnt vmcnt(0)
	v_add_co_u32_e32 v11, vcc, s24, v7
	v_addc_co_u32_e32 v12, vcc, v8, v1, vcc
	s_and_saveexec_b64 s[22:23], s[4:5]
	s_cbranch_execz .LBB2_1331
; %bb.1330:                             ;   in Loop: Header=BB2_1323 Depth=1
	v_mov_b32_e32 v3, s18
	v_mov_b32_e32 v4, s19
	global_store_dwordx4 v[11:12], v[3:6], off offset:8
.LBB2_1331:                             ;   in Loop: Header=BB2_1323 Depth=1
	s_or_b64 exec, exec, s[22:23]
	s_lshl_b64 s[18:19], s[20:21], 12
	v_mov_b32_e32 v1, s19
	v_add_co_u32_e32 v13, vcc, s18, v9
	v_addc_co_u32_e32 v14, vcc, v10, v1, vcc
	v_mov_b32_e32 v18, s11
	v_mov_b32_e32 v1, v2
	;; [unrolled: 1-line block ×3, first 2 shown]
	v_readfirstlane_b32 s18, v13
	v_readfirstlane_b32 s19, v14
	v_mov_b32_e32 v17, s10
	v_mov_b32_e32 v16, s9
	;; [unrolled: 1-line block ×3, first 2 shown]
	s_nop 1
	global_store_dwordx4 v37, v[0:3], s[18:19]
	global_store_dwordx4 v37, v[15:18], s[18:19] offset:16
	global_store_dwordx4 v37, v[15:18], s[18:19] offset:32
	;; [unrolled: 1-line block ×3, first 2 shown]
	s_and_saveexec_b64 s[18:19], s[4:5]
	s_cbranch_execz .LBB2_1339
; %bb.1332:                             ;   in Loop: Header=BB2_1323 Depth=1
	global_load_dwordx2 v[17:18], v2, s[34:35] offset:32 glc
	global_load_dwordx2 v[3:4], v2, s[34:35] offset:40
	v_mov_b32_e32 v15, s16
	v_mov_b32_e32 v16, s17
	s_waitcnt vmcnt(0)
	v_readfirstlane_b32 s20, v3
	v_readfirstlane_b32 s21, v4
	s_and_b64 s[20:21], s[20:21], s[16:17]
	s_mul_i32 s21, s21, 24
	s_mul_hi_u32 s22, s20, 24
	s_mul_i32 s20, s20, 24
	s_add_i32 s21, s22, s21
	v_mov_b32_e32 v1, s21
	v_add_co_u32_e32 v3, vcc, s20, v7
	v_addc_co_u32_e32 v4, vcc, v8, v1, vcc
	global_store_dwordx2 v[3:4], v[17:18], off
	s_waitcnt vmcnt(0)
	global_atomic_cmpswap_x2 v[9:10], v2, v[15:18], s[34:35] offset:32 glc
	s_waitcnt vmcnt(0)
	v_cmp_ne_u64_e32 vcc, v[9:10], v[17:18]
	s_and_saveexec_b64 s[20:21], vcc
	s_cbranch_execz .LBB2_1335
; %bb.1333:                             ;   in Loop: Header=BB2_1323 Depth=1
	s_mov_b64 s[22:23], 0
.LBB2_1334:                             ;   Parent Loop BB2_1323 Depth=1
                                        ; =>  This Inner Loop Header: Depth=2
	s_sleep 1
	global_store_dwordx2 v[3:4], v[9:10], off
	v_mov_b32_e32 v7, s16
	v_mov_b32_e32 v8, s17
	s_waitcnt vmcnt(0)
	global_atomic_cmpswap_x2 v[7:8], v2, v[7:10], s[34:35] offset:32 glc
	s_waitcnt vmcnt(0)
	v_cmp_eq_u64_e32 vcc, v[7:8], v[9:10]
	v_mov_b32_e32 v10, v8
	s_or_b64 s[22:23], vcc, s[22:23]
	v_mov_b32_e32 v9, v7
	s_andn2_b64 exec, exec, s[22:23]
	s_cbranch_execnz .LBB2_1334
.LBB2_1335:                             ;   in Loop: Header=BB2_1323 Depth=1
	s_or_b64 exec, exec, s[20:21]
	global_load_dwordx2 v[3:4], v2, s[34:35] offset:16
	s_mov_b64 s[22:23], exec
	v_mbcnt_lo_u32_b32 v1, s22, 0
	v_mbcnt_hi_u32_b32 v1, s23, v1
	v_cmp_eq_u32_e32 vcc, 0, v1
	s_and_saveexec_b64 s[20:21], vcc
	s_cbranch_execz .LBB2_1337
; %bb.1336:                             ;   in Loop: Header=BB2_1323 Depth=1
	s_bcnt1_i32_b64 s22, s[22:23]
	v_mov_b32_e32 v1, s22
	s_waitcnt vmcnt(0)
	global_atomic_add_x2 v[3:4], v[1:2], off offset:8
.LBB2_1337:                             ;   in Loop: Header=BB2_1323 Depth=1
	s_or_b64 exec, exec, s[20:21]
	s_waitcnt vmcnt(0)
	global_load_dwordx2 v[7:8], v[3:4], off offset:16
	s_waitcnt vmcnt(0)
	v_cmp_eq_u64_e32 vcc, 0, v[7:8]
	s_cbranch_vccnz .LBB2_1339
; %bb.1338:                             ;   in Loop: Header=BB2_1323 Depth=1
	global_load_dword v1, v[3:4], off offset:24
	s_waitcnt vmcnt(0)
	v_readfirstlane_b32 s20, v1
	s_and_b32 m0, s20, 0xffffff
	global_store_dwordx2 v[7:8], v[1:2], off
	s_sendmsg sendmsg(MSG_INTERRUPT)
.LBB2_1339:                             ;   in Loop: Header=BB2_1323 Depth=1
	s_or_b64 exec, exec, s[18:19]
	v_add_co_u32_e32 v3, vcc, v13, v37
	v_addc_co_u32_e32 v4, vcc, 0, v14, vcc
	s_branch .LBB2_1343
.LBB2_1340:                             ;   in Loop: Header=BB2_1343 Depth=2
	s_or_b64 exec, exec, s[18:19]
	v_readfirstlane_b32 s18, v1
	s_cmp_eq_u32 s18, 0
	s_cbranch_scc1 .LBB2_1342
; %bb.1341:                             ;   in Loop: Header=BB2_1343 Depth=2
	s_sleep 1
	s_cbranch_execnz .LBB2_1343
	s_branch .LBB2_1345
.LBB2_1342:                             ;   in Loop: Header=BB2_1323 Depth=1
	s_branch .LBB2_1345
.LBB2_1343:                             ;   Parent Loop BB2_1323 Depth=1
                                        ; =>  This Inner Loop Header: Depth=2
	v_mov_b32_e32 v1, 1
	s_and_saveexec_b64 s[18:19], s[4:5]
	s_cbranch_execz .LBB2_1340
; %bb.1344:                             ;   in Loop: Header=BB2_1343 Depth=2
	global_load_dword v1, v[11:12], off offset:20 glc
	s_waitcnt vmcnt(0)
	buffer_wbinvl1_vol
	v_and_b32_e32 v1, 1, v1
	s_branch .LBB2_1340
.LBB2_1345:                             ;   in Loop: Header=BB2_1323 Depth=1
	global_load_dwordx2 v[11:12], v[3:4], off
	s_and_saveexec_b64 s[18:19], s[4:5]
	s_cbranch_execz .LBB2_1349
; %bb.1346:                             ;   in Loop: Header=BB2_1323 Depth=1
	global_load_dwordx2 v[3:4], v2, s[34:35] offset:40
	global_load_dwordx2 v[15:16], v2, s[34:35] offset:24 glc
	global_load_dwordx2 v[7:8], v2, s[34:35]
	s_waitcnt vmcnt(2)
	v_readfirstlane_b32 s20, v3
	v_readfirstlane_b32 s21, v4
	s_add_u32 s22, s20, 1
	s_addc_u32 s23, s21, 0
	s_add_u32 s4, s22, s16
	s_addc_u32 s5, s23, s17
	s_cmp_eq_u64 s[4:5], 0
	s_cselect_b32 s5, s23, s5
	s_cselect_b32 s4, s22, s4
	s_and_b64 s[16:17], s[4:5], s[20:21]
	s_mul_i32 s17, s17, 24
	s_mul_hi_u32 s20, s16, 24
	s_mul_i32 s16, s16, 24
	s_add_i32 s17, s20, s17
	v_mov_b32_e32 v1, s17
	s_waitcnt vmcnt(0)
	v_add_co_u32_e32 v3, vcc, s16, v7
	v_addc_co_u32_e32 v4, vcc, v8, v1, vcc
	v_mov_b32_e32 v13, s4
	global_store_dwordx2 v[3:4], v[15:16], off
	v_mov_b32_e32 v14, s5
	s_waitcnt vmcnt(0)
	global_atomic_cmpswap_x2 v[9:10], v2, v[13:16], s[34:35] offset:24 glc
	s_waitcnt vmcnt(0)
	v_cmp_ne_u64_e32 vcc, v[9:10], v[15:16]
	s_and_b64 exec, exec, vcc
	s_cbranch_execz .LBB2_1349
; %bb.1347:                             ;   in Loop: Header=BB2_1323 Depth=1
	s_mov_b64 s[16:17], 0
.LBB2_1348:                             ;   Parent Loop BB2_1323 Depth=1
                                        ; =>  This Inner Loop Header: Depth=2
	s_sleep 1
	global_store_dwordx2 v[3:4], v[9:10], off
	v_mov_b32_e32 v7, s4
	v_mov_b32_e32 v8, s5
	s_waitcnt vmcnt(0)
	global_atomic_cmpswap_x2 v[7:8], v2, v[7:10], s[34:35] offset:24 glc
	s_waitcnt vmcnt(0)
	v_cmp_eq_u64_e32 vcc, v[7:8], v[9:10]
	v_mov_b32_e32 v10, v8
	s_or_b64 s[16:17], vcc, s[16:17]
	v_mov_b32_e32 v9, v7
	s_andn2_b64 exec, exec, s[16:17]
	s_cbranch_execnz .LBB2_1348
.LBB2_1349:                             ;   in Loop: Header=BB2_1323 Depth=1
	s_or_b64 exec, exec, s[18:19]
	s_and_b64 vcc, exec, s[14:15]
	s_cbranch_vccz .LBB2_1435
; %bb.1350:                             ;   in Loop: Header=BB2_1323 Depth=1
	s_waitcnt vmcnt(0)
	v_and_b32_e32 v7, -3, v11
	v_mov_b32_e32 v8, v12
	s_mov_b64 s[18:19], 6
	s_getpc_b64 s[16:17]
	s_add_u32 s16, s16, .str.5@rel32@lo+4
	s_addc_u32 s17, s17, .str.5@rel32@hi+12
	s_branch .LBB2_1352
.LBB2_1351:                             ;   in Loop: Header=BB2_1352 Depth=2
	s_or_b64 exec, exec, s[24:25]
	s_sub_u32 s18, s18, s20
	s_subb_u32 s19, s19, s21
	s_add_u32 s16, s16, s20
	s_addc_u32 s17, s17, s21
	s_cmp_lg_u64 s[18:19], 0
	s_cbranch_scc0 .LBB2_1434
.LBB2_1352:                             ;   Parent Loop BB2_1323 Depth=1
                                        ; =>  This Loop Header: Depth=2
                                        ;       Child Loop BB2_1355 Depth 3
                                        ;       Child Loop BB2_1363 Depth 3
	;; [unrolled: 1-line block ×11, first 2 shown]
	v_cmp_lt_u64_e64 s[4:5], s[18:19], 56
	v_cmp_gt_u64_e64 s[22:23], s[18:19], 7
	s_and_b64 s[4:5], s[4:5], exec
	s_cselect_b32 s21, s19, 0
	s_cselect_b32 s20, s18, 56
	s_add_u32 s4, s16, 8
	s_addc_u32 s5, s17, 0
	s_and_b64 vcc, exec, s[22:23]
	s_cbranch_vccnz .LBB2_1356
; %bb.1353:                             ;   in Loop: Header=BB2_1352 Depth=2
	s_cmp_eq_u64 s[18:19], 0
	s_cbranch_scc1 .LBB2_1357
; %bb.1354:                             ;   in Loop: Header=BB2_1352 Depth=2
	v_mov_b32_e32 v9, 0
	s_lshl_b64 s[4:5], s[20:21], 3
	s_mov_b64 s[22:23], 0
	v_mov_b32_e32 v10, 0
	s_mov_b64 s[24:25], s[16:17]
.LBB2_1355:                             ;   Parent Loop BB2_1323 Depth=1
                                        ;     Parent Loop BB2_1352 Depth=2
                                        ; =>    This Inner Loop Header: Depth=3
	global_load_ubyte v1, v2, s[24:25]
	s_waitcnt vmcnt(0)
	v_and_b32_e32 v1, 0xffff, v1
	v_lshlrev_b64 v[3:4], s22, v[1:2]
	s_add_u32 s22, s22, 8
	s_addc_u32 s23, s23, 0
	s_add_u32 s24, s24, 1
	s_addc_u32 s25, s25, 0
	v_or_b32_e32 v9, v3, v9
	s_cmp_lg_u32 s4, s22
	v_or_b32_e32 v10, v4, v10
	s_cbranch_scc1 .LBB2_1355
	s_branch .LBB2_1358
.LBB2_1356:                             ;   in Loop: Header=BB2_1352 Depth=2
	s_mov_b32 s36, 0
	s_branch .LBB2_1359
.LBB2_1357:                             ;   in Loop: Header=BB2_1352 Depth=2
	v_mov_b32_e32 v9, 0
	v_mov_b32_e32 v10, 0
.LBB2_1358:                             ;   in Loop: Header=BB2_1352 Depth=2
	s_mov_b64 s[4:5], s[16:17]
	s_mov_b32 s36, 0
	s_cbranch_execnz .LBB2_1360
.LBB2_1359:                             ;   in Loop: Header=BB2_1352 Depth=2
	global_load_dwordx2 v[9:10], v2, s[16:17]
	s_add_i32 s36, s20, -8
.LBB2_1360:                             ;   in Loop: Header=BB2_1352 Depth=2
	s_add_u32 s22, s4, 8
	s_addc_u32 s23, s5, 0
	s_cmp_gt_u32 s36, 7
	s_cbranch_scc1 .LBB2_1364
; %bb.1361:                             ;   in Loop: Header=BB2_1352 Depth=2
	s_cmp_eq_u32 s36, 0
	s_cbranch_scc1 .LBB2_1365
; %bb.1362:                             ;   in Loop: Header=BB2_1352 Depth=2
	v_mov_b32_e32 v13, 0
	s_mov_b64 s[22:23], 0
	v_mov_b32_e32 v14, 0
	s_mov_b64 s[24:25], 0
.LBB2_1363:                             ;   Parent Loop BB2_1323 Depth=1
                                        ;     Parent Loop BB2_1352 Depth=2
                                        ; =>    This Inner Loop Header: Depth=3
	s_add_u32 s38, s4, s24
	s_addc_u32 s39, s5, s25
	global_load_ubyte v1, v2, s[38:39]
	s_add_u32 s24, s24, 1
	s_addc_u32 s25, s25, 0
	s_waitcnt vmcnt(0)
	v_and_b32_e32 v1, 0xffff, v1
	v_lshlrev_b64 v[3:4], s22, v[1:2]
	s_add_u32 s22, s22, 8
	s_addc_u32 s23, s23, 0
	v_or_b32_e32 v13, v3, v13
	s_cmp_lg_u32 s36, s24
	v_or_b32_e32 v14, v4, v14
	s_cbranch_scc1 .LBB2_1363
	s_branch .LBB2_1366
.LBB2_1364:                             ;   in Loop: Header=BB2_1352 Depth=2
                                        ; implicit-def: $vgpr13_vgpr14
	s_mov_b32 s37, 0
	s_branch .LBB2_1367
.LBB2_1365:                             ;   in Loop: Header=BB2_1352 Depth=2
	v_mov_b32_e32 v13, 0
	v_mov_b32_e32 v14, 0
.LBB2_1366:                             ;   in Loop: Header=BB2_1352 Depth=2
	s_mov_b64 s[22:23], s[4:5]
	s_mov_b32 s37, 0
	s_cbranch_execnz .LBB2_1368
.LBB2_1367:                             ;   in Loop: Header=BB2_1352 Depth=2
	global_load_dwordx2 v[13:14], v2, s[4:5]
	s_add_i32 s37, s36, -8
.LBB2_1368:                             ;   in Loop: Header=BB2_1352 Depth=2
	s_add_u32 s4, s22, 8
	s_addc_u32 s5, s23, 0
	s_cmp_gt_u32 s37, 7
	s_cbranch_scc1 .LBB2_1372
; %bb.1369:                             ;   in Loop: Header=BB2_1352 Depth=2
	s_cmp_eq_u32 s37, 0
	s_cbranch_scc1 .LBB2_1373
; %bb.1370:                             ;   in Loop: Header=BB2_1352 Depth=2
	v_mov_b32_e32 v15, 0
	s_mov_b64 s[4:5], 0
	v_mov_b32_e32 v16, 0
	s_mov_b64 s[24:25], 0
.LBB2_1371:                             ;   Parent Loop BB2_1323 Depth=1
                                        ;     Parent Loop BB2_1352 Depth=2
                                        ; =>    This Inner Loop Header: Depth=3
	s_add_u32 s38, s22, s24
	s_addc_u32 s39, s23, s25
	global_load_ubyte v1, v2, s[38:39]
	s_add_u32 s24, s24, 1
	s_addc_u32 s25, s25, 0
	s_waitcnt vmcnt(0)
	v_and_b32_e32 v1, 0xffff, v1
	v_lshlrev_b64 v[3:4], s4, v[1:2]
	s_add_u32 s4, s4, 8
	s_addc_u32 s5, s5, 0
	v_or_b32_e32 v15, v3, v15
	s_cmp_lg_u32 s37, s24
	v_or_b32_e32 v16, v4, v16
	s_cbranch_scc1 .LBB2_1371
	s_branch .LBB2_1374
.LBB2_1372:                             ;   in Loop: Header=BB2_1352 Depth=2
	s_mov_b32 s36, 0
	s_branch .LBB2_1375
.LBB2_1373:                             ;   in Loop: Header=BB2_1352 Depth=2
	v_mov_b32_e32 v15, 0
	v_mov_b32_e32 v16, 0
.LBB2_1374:                             ;   in Loop: Header=BB2_1352 Depth=2
	s_mov_b64 s[4:5], s[22:23]
	s_mov_b32 s36, 0
	s_cbranch_execnz .LBB2_1376
.LBB2_1375:                             ;   in Loop: Header=BB2_1352 Depth=2
	global_load_dwordx2 v[15:16], v2, s[22:23]
	s_add_i32 s36, s37, -8
.LBB2_1376:                             ;   in Loop: Header=BB2_1352 Depth=2
	s_add_u32 s22, s4, 8
	s_addc_u32 s23, s5, 0
	s_cmp_gt_u32 s36, 7
	s_cbranch_scc1 .LBB2_1380
; %bb.1377:                             ;   in Loop: Header=BB2_1352 Depth=2
	s_cmp_eq_u32 s36, 0
	s_cbranch_scc1 .LBB2_1381
; %bb.1378:                             ;   in Loop: Header=BB2_1352 Depth=2
	v_mov_b32_e32 v17, 0
	s_mov_b64 s[22:23], 0
	v_mov_b32_e32 v18, 0
	s_mov_b64 s[24:25], 0
.LBB2_1379:                             ;   Parent Loop BB2_1323 Depth=1
                                        ;     Parent Loop BB2_1352 Depth=2
                                        ; =>    This Inner Loop Header: Depth=3
	s_add_u32 s38, s4, s24
	s_addc_u32 s39, s5, s25
	global_load_ubyte v1, v2, s[38:39]
	s_add_u32 s24, s24, 1
	s_addc_u32 s25, s25, 0
	s_waitcnt vmcnt(0)
	v_and_b32_e32 v1, 0xffff, v1
	v_lshlrev_b64 v[3:4], s22, v[1:2]
	s_add_u32 s22, s22, 8
	s_addc_u32 s23, s23, 0
	v_or_b32_e32 v17, v3, v17
	s_cmp_lg_u32 s36, s24
	v_or_b32_e32 v18, v4, v18
	s_cbranch_scc1 .LBB2_1379
	s_branch .LBB2_1382
.LBB2_1380:                             ;   in Loop: Header=BB2_1352 Depth=2
                                        ; implicit-def: $vgpr17_vgpr18
	s_mov_b32 s37, 0
	s_branch .LBB2_1383
.LBB2_1381:                             ;   in Loop: Header=BB2_1352 Depth=2
	v_mov_b32_e32 v17, 0
	v_mov_b32_e32 v18, 0
.LBB2_1382:                             ;   in Loop: Header=BB2_1352 Depth=2
	s_mov_b64 s[22:23], s[4:5]
	s_mov_b32 s37, 0
	s_cbranch_execnz .LBB2_1384
.LBB2_1383:                             ;   in Loop: Header=BB2_1352 Depth=2
	global_load_dwordx2 v[17:18], v2, s[4:5]
	s_add_i32 s37, s36, -8
.LBB2_1384:                             ;   in Loop: Header=BB2_1352 Depth=2
	s_add_u32 s4, s22, 8
	s_addc_u32 s5, s23, 0
	s_cmp_gt_u32 s37, 7
	s_cbranch_scc1 .LBB2_1388
; %bb.1385:                             ;   in Loop: Header=BB2_1352 Depth=2
	s_cmp_eq_u32 s37, 0
	s_cbranch_scc1 .LBB2_1389
; %bb.1386:                             ;   in Loop: Header=BB2_1352 Depth=2
	v_mov_b32_e32 v19, 0
	s_mov_b64 s[4:5], 0
	v_mov_b32_e32 v20, 0
	s_mov_b64 s[24:25], 0
.LBB2_1387:                             ;   Parent Loop BB2_1323 Depth=1
                                        ;     Parent Loop BB2_1352 Depth=2
                                        ; =>    This Inner Loop Header: Depth=3
	s_add_u32 s38, s22, s24
	s_addc_u32 s39, s23, s25
	global_load_ubyte v1, v2, s[38:39]
	s_add_u32 s24, s24, 1
	s_addc_u32 s25, s25, 0
	s_waitcnt vmcnt(0)
	v_and_b32_e32 v1, 0xffff, v1
	v_lshlrev_b64 v[3:4], s4, v[1:2]
	s_add_u32 s4, s4, 8
	s_addc_u32 s5, s5, 0
	v_or_b32_e32 v19, v3, v19
	s_cmp_lg_u32 s37, s24
	v_or_b32_e32 v20, v4, v20
	s_cbranch_scc1 .LBB2_1387
	s_branch .LBB2_1390
.LBB2_1388:                             ;   in Loop: Header=BB2_1352 Depth=2
	s_mov_b32 s36, 0
	s_branch .LBB2_1391
.LBB2_1389:                             ;   in Loop: Header=BB2_1352 Depth=2
	v_mov_b32_e32 v19, 0
	v_mov_b32_e32 v20, 0
.LBB2_1390:                             ;   in Loop: Header=BB2_1352 Depth=2
	s_mov_b64 s[4:5], s[22:23]
	s_mov_b32 s36, 0
	s_cbranch_execnz .LBB2_1392
.LBB2_1391:                             ;   in Loop: Header=BB2_1352 Depth=2
	global_load_dwordx2 v[19:20], v2, s[22:23]
	s_add_i32 s36, s37, -8
.LBB2_1392:                             ;   in Loop: Header=BB2_1352 Depth=2
	s_add_u32 s22, s4, 8
	s_addc_u32 s23, s5, 0
	s_cmp_gt_u32 s36, 7
	s_cbranch_scc1 .LBB2_1396
; %bb.1393:                             ;   in Loop: Header=BB2_1352 Depth=2
	s_cmp_eq_u32 s36, 0
	s_cbranch_scc1 .LBB2_1397
; %bb.1394:                             ;   in Loop: Header=BB2_1352 Depth=2
	v_mov_b32_e32 v21, 0
	s_mov_b64 s[22:23], 0
	v_mov_b32_e32 v22, 0
	s_mov_b64 s[24:25], 0
.LBB2_1395:                             ;   Parent Loop BB2_1323 Depth=1
                                        ;     Parent Loop BB2_1352 Depth=2
                                        ; =>    This Inner Loop Header: Depth=3
	s_add_u32 s38, s4, s24
	s_addc_u32 s39, s5, s25
	global_load_ubyte v1, v2, s[38:39]
	s_add_u32 s24, s24, 1
	s_addc_u32 s25, s25, 0
	s_waitcnt vmcnt(0)
	v_and_b32_e32 v1, 0xffff, v1
	v_lshlrev_b64 v[3:4], s22, v[1:2]
	s_add_u32 s22, s22, 8
	s_addc_u32 s23, s23, 0
	v_or_b32_e32 v21, v3, v21
	s_cmp_lg_u32 s36, s24
	v_or_b32_e32 v22, v4, v22
	s_cbranch_scc1 .LBB2_1395
	s_branch .LBB2_1398
.LBB2_1396:                             ;   in Loop: Header=BB2_1352 Depth=2
                                        ; implicit-def: $vgpr21_vgpr22
	s_mov_b32 s37, 0
	s_branch .LBB2_1399
.LBB2_1397:                             ;   in Loop: Header=BB2_1352 Depth=2
	v_mov_b32_e32 v21, 0
	v_mov_b32_e32 v22, 0
.LBB2_1398:                             ;   in Loop: Header=BB2_1352 Depth=2
	s_mov_b64 s[22:23], s[4:5]
	s_mov_b32 s37, 0
	s_cbranch_execnz .LBB2_1400
.LBB2_1399:                             ;   in Loop: Header=BB2_1352 Depth=2
	global_load_dwordx2 v[21:22], v2, s[4:5]
	s_add_i32 s37, s36, -8
.LBB2_1400:                             ;   in Loop: Header=BB2_1352 Depth=2
	s_cmp_gt_u32 s37, 7
	s_cbranch_scc1 .LBB2_1404
; %bb.1401:                             ;   in Loop: Header=BB2_1352 Depth=2
	s_cmp_eq_u32 s37, 0
	s_cbranch_scc1 .LBB2_1405
; %bb.1402:                             ;   in Loop: Header=BB2_1352 Depth=2
	v_mov_b32_e32 v23, 0
	s_mov_b64 s[4:5], 0
	v_mov_b32_e32 v24, 0
	s_mov_b64 s[24:25], s[22:23]
.LBB2_1403:                             ;   Parent Loop BB2_1323 Depth=1
                                        ;     Parent Loop BB2_1352 Depth=2
                                        ; =>    This Inner Loop Header: Depth=3
	global_load_ubyte v1, v2, s[24:25]
	s_add_i32 s37, s37, -1
	s_waitcnt vmcnt(0)
	v_and_b32_e32 v1, 0xffff, v1
	v_lshlrev_b64 v[3:4], s4, v[1:2]
	s_add_u32 s4, s4, 8
	s_addc_u32 s5, s5, 0
	s_add_u32 s24, s24, 1
	s_addc_u32 s25, s25, 0
	v_or_b32_e32 v23, v3, v23
	s_cmp_lg_u32 s37, 0
	v_or_b32_e32 v24, v4, v24
	s_cbranch_scc1 .LBB2_1403
	s_branch .LBB2_1406
.LBB2_1404:                             ;   in Loop: Header=BB2_1352 Depth=2
	s_branch .LBB2_1407
.LBB2_1405:                             ;   in Loop: Header=BB2_1352 Depth=2
	v_mov_b32_e32 v23, 0
	v_mov_b32_e32 v24, 0
.LBB2_1406:                             ;   in Loop: Header=BB2_1352 Depth=2
	s_cbranch_execnz .LBB2_1408
.LBB2_1407:                             ;   in Loop: Header=BB2_1352 Depth=2
	global_load_dwordx2 v[23:24], v2, s[22:23]
.LBB2_1408:                             ;   in Loop: Header=BB2_1352 Depth=2
	v_readfirstlane_b32 s4, v38
	v_mov_b32_e32 v3, 0
	v_mov_b32_e32 v4, 0
	v_cmp_eq_u32_e64 s[4:5], s4, v38
	s_and_saveexec_b64 s[22:23], s[4:5]
	s_cbranch_execz .LBB2_1414
; %bb.1409:                             ;   in Loop: Header=BB2_1352 Depth=2
	global_load_dwordx2 v[27:28], v2, s[34:35] offset:24 glc
	s_waitcnt vmcnt(0)
	buffer_wbinvl1_vol
	global_load_dwordx2 v[3:4], v2, s[34:35] offset:40
	global_load_dwordx2 v[25:26], v2, s[34:35]
	s_waitcnt vmcnt(1)
	v_and_b32_e32 v1, v3, v27
	v_and_b32_e32 v3, v4, v28
	v_mul_lo_u32 v3, v3, 24
	v_mul_hi_u32 v4, v1, 24
	v_mul_lo_u32 v1, v1, 24
	v_add_u32_e32 v4, v4, v3
	s_waitcnt vmcnt(0)
	v_add_co_u32_e32 v3, vcc, v25, v1
	v_addc_co_u32_e32 v4, vcc, v26, v4, vcc
	global_load_dwordx2 v[25:26], v[3:4], off glc
	s_waitcnt vmcnt(0)
	global_atomic_cmpswap_x2 v[3:4], v2, v[25:28], s[34:35] offset:24 glc
	s_waitcnt vmcnt(0)
	buffer_wbinvl1_vol
	v_cmp_ne_u64_e32 vcc, v[3:4], v[27:28]
	s_and_saveexec_b64 s[24:25], vcc
	s_cbranch_execz .LBB2_1413
; %bb.1410:                             ;   in Loop: Header=BB2_1352 Depth=2
	s_mov_b64 s[36:37], 0
.LBB2_1411:                             ;   Parent Loop BB2_1323 Depth=1
                                        ;     Parent Loop BB2_1352 Depth=2
                                        ; =>    This Inner Loop Header: Depth=3
	s_sleep 1
	global_load_dwordx2 v[25:26], v2, s[34:35] offset:40
	global_load_dwordx2 v[29:30], v2, s[34:35]
	v_mov_b32_e32 v28, v4
	v_mov_b32_e32 v27, v3
	s_waitcnt vmcnt(1)
	v_and_b32_e32 v1, v25, v27
	s_waitcnt vmcnt(0)
	v_mad_u64_u32 v[3:4], s[38:39], v1, 24, v[29:30]
	v_and_b32_e32 v25, v26, v28
	v_mov_b32_e32 v1, v4
	v_mad_u64_u32 v[25:26], s[38:39], v25, 24, v[1:2]
	v_mov_b32_e32 v4, v25
	global_load_dwordx2 v[25:26], v[3:4], off glc
	s_waitcnt vmcnt(0)
	global_atomic_cmpswap_x2 v[3:4], v2, v[25:28], s[34:35] offset:24 glc
	s_waitcnt vmcnt(0)
	buffer_wbinvl1_vol
	v_cmp_eq_u64_e32 vcc, v[3:4], v[27:28]
	s_or_b64 s[36:37], vcc, s[36:37]
	s_andn2_b64 exec, exec, s[36:37]
	s_cbranch_execnz .LBB2_1411
; %bb.1412:                             ;   in Loop: Header=BB2_1352 Depth=2
	s_or_b64 exec, exec, s[36:37]
.LBB2_1413:                             ;   in Loop: Header=BB2_1352 Depth=2
	s_or_b64 exec, exec, s[24:25]
.LBB2_1414:                             ;   in Loop: Header=BB2_1352 Depth=2
	s_or_b64 exec, exec, s[22:23]
	global_load_dwordx2 v[29:30], v2, s[34:35] offset:40
	global_load_dwordx4 v[25:28], v2, s[34:35]
	v_readfirstlane_b32 s23, v4
	v_readfirstlane_b32 s22, v3
	s_mov_b64 s[24:25], exec
	s_waitcnt vmcnt(1)
	v_readfirstlane_b32 s36, v29
	v_readfirstlane_b32 s37, v30
	s_and_b64 s[36:37], s[36:37], s[22:23]
	s_mul_i32 s38, s37, 24
	s_mul_hi_u32 s39, s36, 24
	s_mul_i32 s40, s36, 24
	s_add_i32 s38, s39, s38
	v_mov_b32_e32 v1, s38
	s_waitcnt vmcnt(0)
	v_add_co_u32_e32 v29, vcc, s40, v25
	v_addc_co_u32_e32 v30, vcc, v26, v1, vcc
	s_and_saveexec_b64 s[38:39], s[4:5]
	s_cbranch_execz .LBB2_1416
; %bb.1415:                             ;   in Loop: Header=BB2_1352 Depth=2
	v_mov_b32_e32 v3, s24
	v_mov_b32_e32 v4, s25
	global_store_dwordx4 v[29:30], v[3:6], off offset:8
.LBB2_1416:                             ;   in Loop: Header=BB2_1352 Depth=2
	s_or_b64 exec, exec, s[38:39]
	s_lshl_b64 s[24:25], s[36:37], 12
	v_mov_b32_e32 v1, s25
	v_add_co_u32_e32 v27, vcc, s24, v27
	v_addc_co_u32_e32 v28, vcc, v28, v1, vcc
	v_cmp_lt_u64_e64 vcc, s[18:19], 57
	v_and_b32_e32 v1, 2, v11
	s_lshl_b32 s24, s20, 2
	v_cndmask_b32_e32 v1, 0, v1, vcc
	s_add_i32 s24, s24, 28
	v_and_b32_e32 v3, 0xffffff1f, v7
	s_and_b32 s24, s24, 0x1e0
	v_or_b32_e32 v1, v3, v1
	v_or_b32_e32 v7, s24, v1
	v_readfirstlane_b32 s24, v27
	v_readfirstlane_b32 s25, v28
	s_nop 4
	global_store_dwordx4 v37, v[7:10], s[24:25]
	global_store_dwordx4 v37, v[13:16], s[24:25] offset:16
	global_store_dwordx4 v37, v[17:20], s[24:25] offset:32
	;; [unrolled: 1-line block ×3, first 2 shown]
	s_and_saveexec_b64 s[24:25], s[4:5]
	s_cbranch_execz .LBB2_1424
; %bb.1417:                             ;   in Loop: Header=BB2_1352 Depth=2
	global_load_dwordx2 v[15:16], v2, s[34:35] offset:32 glc
	global_load_dwordx2 v[3:4], v2, s[34:35] offset:40
	v_mov_b32_e32 v13, s22
	v_mov_b32_e32 v14, s23
	s_waitcnt vmcnt(0)
	v_readfirstlane_b32 s36, v3
	v_readfirstlane_b32 s37, v4
	s_and_b64 s[36:37], s[36:37], s[22:23]
	s_mul_i32 s37, s37, 24
	s_mul_hi_u32 s38, s36, 24
	s_mul_i32 s36, s36, 24
	s_add_i32 s37, s38, s37
	v_mov_b32_e32 v1, s37
	v_add_co_u32_e32 v3, vcc, s36, v25
	v_addc_co_u32_e32 v4, vcc, v26, v1, vcc
	global_store_dwordx2 v[3:4], v[15:16], off
	s_waitcnt vmcnt(0)
	global_atomic_cmpswap_x2 v[9:10], v2, v[13:16], s[34:35] offset:32 glc
	s_waitcnt vmcnt(0)
	v_cmp_ne_u64_e32 vcc, v[9:10], v[15:16]
	s_and_saveexec_b64 s[36:37], vcc
	s_cbranch_execz .LBB2_1420
; %bb.1418:                             ;   in Loop: Header=BB2_1352 Depth=2
	s_mov_b64 s[38:39], 0
.LBB2_1419:                             ;   Parent Loop BB2_1323 Depth=1
                                        ;     Parent Loop BB2_1352 Depth=2
                                        ; =>    This Inner Loop Header: Depth=3
	s_sleep 1
	global_store_dwordx2 v[3:4], v[9:10], off
	v_mov_b32_e32 v7, s22
	v_mov_b32_e32 v8, s23
	s_waitcnt vmcnt(0)
	global_atomic_cmpswap_x2 v[7:8], v2, v[7:10], s[34:35] offset:32 glc
	s_waitcnt vmcnt(0)
	v_cmp_eq_u64_e32 vcc, v[7:8], v[9:10]
	v_mov_b32_e32 v10, v8
	s_or_b64 s[38:39], vcc, s[38:39]
	v_mov_b32_e32 v9, v7
	s_andn2_b64 exec, exec, s[38:39]
	s_cbranch_execnz .LBB2_1419
.LBB2_1420:                             ;   in Loop: Header=BB2_1352 Depth=2
	s_or_b64 exec, exec, s[36:37]
	global_load_dwordx2 v[3:4], v2, s[34:35] offset:16
	s_mov_b64 s[38:39], exec
	v_mbcnt_lo_u32_b32 v1, s38, 0
	v_mbcnt_hi_u32_b32 v1, s39, v1
	v_cmp_eq_u32_e32 vcc, 0, v1
	s_and_saveexec_b64 s[36:37], vcc
	s_cbranch_execz .LBB2_1422
; %bb.1421:                             ;   in Loop: Header=BB2_1352 Depth=2
	s_bcnt1_i32_b64 s38, s[38:39]
	v_mov_b32_e32 v1, s38
	s_waitcnt vmcnt(0)
	global_atomic_add_x2 v[3:4], v[1:2], off offset:8
.LBB2_1422:                             ;   in Loop: Header=BB2_1352 Depth=2
	s_or_b64 exec, exec, s[36:37]
	s_waitcnt vmcnt(0)
	global_load_dwordx2 v[7:8], v[3:4], off offset:16
	s_waitcnt vmcnt(0)
	v_cmp_eq_u64_e32 vcc, 0, v[7:8]
	s_cbranch_vccnz .LBB2_1424
; %bb.1423:                             ;   in Loop: Header=BB2_1352 Depth=2
	global_load_dword v1, v[3:4], off offset:24
	s_waitcnt vmcnt(0)
	v_readfirstlane_b32 s36, v1
	s_and_b32 m0, s36, 0xffffff
	global_store_dwordx2 v[7:8], v[1:2], off
	s_sendmsg sendmsg(MSG_INTERRUPT)
.LBB2_1424:                             ;   in Loop: Header=BB2_1352 Depth=2
	s_or_b64 exec, exec, s[24:25]
	v_add_co_u32_e32 v3, vcc, v27, v37
	v_addc_co_u32_e32 v4, vcc, 0, v28, vcc
	s_branch .LBB2_1428
.LBB2_1425:                             ;   in Loop: Header=BB2_1428 Depth=3
	s_or_b64 exec, exec, s[24:25]
	v_readfirstlane_b32 s24, v1
	s_cmp_eq_u32 s24, 0
	s_cbranch_scc1 .LBB2_1427
; %bb.1426:                             ;   in Loop: Header=BB2_1428 Depth=3
	s_sleep 1
	s_cbranch_execnz .LBB2_1428
	s_branch .LBB2_1430
.LBB2_1427:                             ;   in Loop: Header=BB2_1352 Depth=2
	s_branch .LBB2_1430
.LBB2_1428:                             ;   Parent Loop BB2_1323 Depth=1
                                        ;     Parent Loop BB2_1352 Depth=2
                                        ; =>    This Inner Loop Header: Depth=3
	v_mov_b32_e32 v1, 1
	s_and_saveexec_b64 s[24:25], s[4:5]
	s_cbranch_execz .LBB2_1425
; %bb.1429:                             ;   in Loop: Header=BB2_1428 Depth=3
	global_load_dword v1, v[29:30], off offset:20 glc
	s_waitcnt vmcnt(0)
	buffer_wbinvl1_vol
	v_and_b32_e32 v1, 1, v1
	s_branch .LBB2_1425
.LBB2_1430:                             ;   in Loop: Header=BB2_1352 Depth=2
	global_load_dwordx2 v[7:8], v[3:4], off
	s_and_saveexec_b64 s[24:25], s[4:5]
	s_cbranch_execz .LBB2_1351
; %bb.1431:                             ;   in Loop: Header=BB2_1352 Depth=2
	global_load_dwordx2 v[3:4], v2, s[34:35] offset:40
	global_load_dwordx2 v[17:18], v2, s[34:35] offset:24 glc
	global_load_dwordx2 v[9:10], v2, s[34:35]
	s_waitcnt vmcnt(2)
	v_readfirstlane_b32 s36, v3
	v_readfirstlane_b32 s37, v4
	s_add_u32 s38, s36, 1
	s_addc_u32 s39, s37, 0
	s_add_u32 s4, s38, s22
	s_addc_u32 s5, s39, s23
	s_cmp_eq_u64 s[4:5], 0
	s_cselect_b32 s5, s39, s5
	s_cselect_b32 s4, s38, s4
	s_and_b64 s[22:23], s[4:5], s[36:37]
	s_mul_i32 s23, s23, 24
	s_mul_hi_u32 s36, s22, 24
	s_mul_i32 s22, s22, 24
	s_add_i32 s23, s36, s23
	v_mov_b32_e32 v1, s23
	s_waitcnt vmcnt(0)
	v_add_co_u32_e32 v3, vcc, s22, v9
	v_addc_co_u32_e32 v4, vcc, v10, v1, vcc
	v_mov_b32_e32 v15, s4
	global_store_dwordx2 v[3:4], v[17:18], off
	v_mov_b32_e32 v16, s5
	s_waitcnt vmcnt(0)
	global_atomic_cmpswap_x2 v[15:16], v2, v[15:18], s[34:35] offset:24 glc
	s_waitcnt vmcnt(0)
	v_cmp_ne_u64_e32 vcc, v[15:16], v[17:18]
	s_and_b64 exec, exec, vcc
	s_cbranch_execz .LBB2_1351
; %bb.1432:                             ;   in Loop: Header=BB2_1352 Depth=2
	s_mov_b64 s[22:23], 0
.LBB2_1433:                             ;   Parent Loop BB2_1323 Depth=1
                                        ;     Parent Loop BB2_1352 Depth=2
                                        ; =>    This Inner Loop Header: Depth=3
	s_sleep 1
	global_store_dwordx2 v[3:4], v[15:16], off
	v_mov_b32_e32 v13, s4
	v_mov_b32_e32 v14, s5
	s_waitcnt vmcnt(0)
	global_atomic_cmpswap_x2 v[9:10], v2, v[13:16], s[34:35] offset:24 glc
	s_waitcnt vmcnt(0)
	v_cmp_eq_u64_e32 vcc, v[9:10], v[15:16]
	v_mov_b32_e32 v16, v10
	s_or_b64 s[22:23], vcc, s[22:23]
	v_mov_b32_e32 v15, v9
	s_andn2_b64 exec, exec, s[22:23]
	s_cbranch_execnz .LBB2_1433
	s_branch .LBB2_1351
.LBB2_1434:                             ;   in Loop: Header=BB2_1323 Depth=1
	s_branch .LBB2_1463
.LBB2_1435:                             ;   in Loop: Header=BB2_1323 Depth=1
                                        ; implicit-def: $vgpr7_vgpr8
	s_cbranch_execz .LBB2_1463
; %bb.1436:                             ;   in Loop: Header=BB2_1323 Depth=1
	v_readfirstlane_b32 s4, v38
	v_mov_b32_e32 v3, 0
	v_mov_b32_e32 v4, 0
	v_cmp_eq_u32_e64 s[4:5], s4, v38
	s_and_saveexec_b64 s[16:17], s[4:5]
	s_cbranch_execz .LBB2_1442
; %bb.1437:                             ;   in Loop: Header=BB2_1323 Depth=1
	global_load_dwordx2 v[9:10], v2, s[34:35] offset:24 glc
	s_waitcnt vmcnt(0)
	buffer_wbinvl1_vol
	global_load_dwordx2 v[3:4], v2, s[34:35] offset:40
	global_load_dwordx2 v[7:8], v2, s[34:35]
	s_waitcnt vmcnt(1)
	v_and_b32_e32 v1, v3, v9
	v_and_b32_e32 v3, v4, v10
	v_mul_lo_u32 v3, v3, 24
	v_mul_hi_u32 v4, v1, 24
	v_mul_lo_u32 v1, v1, 24
	v_add_u32_e32 v4, v4, v3
	s_waitcnt vmcnt(0)
	v_add_co_u32_e32 v3, vcc, v7, v1
	v_addc_co_u32_e32 v4, vcc, v8, v4, vcc
	global_load_dwordx2 v[7:8], v[3:4], off glc
	s_waitcnt vmcnt(0)
	global_atomic_cmpswap_x2 v[3:4], v2, v[7:10], s[34:35] offset:24 glc
	s_waitcnt vmcnt(0)
	buffer_wbinvl1_vol
	v_cmp_ne_u64_e32 vcc, v[3:4], v[9:10]
	s_and_saveexec_b64 s[18:19], vcc
	s_cbranch_execz .LBB2_1441
; %bb.1438:                             ;   in Loop: Header=BB2_1323 Depth=1
	s_mov_b64 s[20:21], 0
.LBB2_1439:                             ;   Parent Loop BB2_1323 Depth=1
                                        ; =>  This Inner Loop Header: Depth=2
	s_sleep 1
	global_load_dwordx2 v[7:8], v2, s[34:35] offset:40
	global_load_dwordx2 v[13:14], v2, s[34:35]
	v_mov_b32_e32 v10, v4
	v_mov_b32_e32 v9, v3
	s_waitcnt vmcnt(1)
	v_and_b32_e32 v1, v7, v9
	s_waitcnt vmcnt(0)
	v_mad_u64_u32 v[3:4], s[22:23], v1, 24, v[13:14]
	v_and_b32_e32 v7, v8, v10
	v_mov_b32_e32 v1, v4
	v_mad_u64_u32 v[7:8], s[22:23], v7, 24, v[1:2]
	v_mov_b32_e32 v4, v7
	global_load_dwordx2 v[7:8], v[3:4], off glc
	s_waitcnt vmcnt(0)
	global_atomic_cmpswap_x2 v[3:4], v2, v[7:10], s[34:35] offset:24 glc
	s_waitcnt vmcnt(0)
	buffer_wbinvl1_vol
	v_cmp_eq_u64_e32 vcc, v[3:4], v[9:10]
	s_or_b64 s[20:21], vcc, s[20:21]
	s_andn2_b64 exec, exec, s[20:21]
	s_cbranch_execnz .LBB2_1439
; %bb.1440:                             ;   in Loop: Header=BB2_1323 Depth=1
	s_or_b64 exec, exec, s[20:21]
.LBB2_1441:                             ;   in Loop: Header=BB2_1323 Depth=1
	s_or_b64 exec, exec, s[18:19]
.LBB2_1442:                             ;   in Loop: Header=BB2_1323 Depth=1
	s_or_b64 exec, exec, s[16:17]
	global_load_dwordx2 v[13:14], v2, s[34:35] offset:40
	global_load_dwordx4 v[7:10], v2, s[34:35]
	v_readfirstlane_b32 s17, v4
	v_readfirstlane_b32 s16, v3
	s_mov_b64 s[18:19], exec
	s_waitcnt vmcnt(1)
	v_readfirstlane_b32 s20, v13
	v_readfirstlane_b32 s21, v14
	s_and_b64 s[20:21], s[20:21], s[16:17]
	s_mul_i32 s22, s21, 24
	s_mul_hi_u32 s23, s20, 24
	s_mul_i32 s24, s20, 24
	s_add_i32 s22, s23, s22
	v_mov_b32_e32 v1, s22
	s_waitcnt vmcnt(0)
	v_add_co_u32_e32 v15, vcc, s24, v7
	v_addc_co_u32_e32 v16, vcc, v8, v1, vcc
	s_and_saveexec_b64 s[22:23], s[4:5]
	s_cbranch_execz .LBB2_1444
; %bb.1443:                             ;   in Loop: Header=BB2_1323 Depth=1
	v_mov_b32_e32 v3, s18
	v_mov_b32_e32 v4, s19
	global_store_dwordx4 v[15:16], v[3:6], off offset:8
.LBB2_1444:                             ;   in Loop: Header=BB2_1323 Depth=1
	s_or_b64 exec, exec, s[22:23]
	s_lshl_b64 s[18:19], s[20:21], 12
	v_mov_b32_e32 v1, s19
	v_add_co_u32_e32 v17, vcc, s18, v9
	v_addc_co_u32_e32 v18, vcc, v10, v1, vcc
	v_and_or_b32 v11, v11, s29, 32
	v_mov_b32_e32 v13, v2
	v_mov_b32_e32 v14, v2
	v_readfirstlane_b32 s18, v17
	v_readfirstlane_b32 s19, v18
	s_nop 4
	global_store_dwordx4 v37, v[11:14], s[18:19]
	s_nop 0
	v_mov_b32_e32 v12, s11
	v_mov_b32_e32 v11, s10
	;; [unrolled: 1-line block ×4, first 2 shown]
	global_store_dwordx4 v37, v[9:12], s[18:19] offset:16
	global_store_dwordx4 v37, v[9:12], s[18:19] offset:32
	;; [unrolled: 1-line block ×3, first 2 shown]
	s_and_saveexec_b64 s[18:19], s[4:5]
	s_cbranch_execz .LBB2_1452
; %bb.1445:                             ;   in Loop: Header=BB2_1323 Depth=1
	global_load_dwordx2 v[11:12], v2, s[34:35] offset:32 glc
	global_load_dwordx2 v[3:4], v2, s[34:35] offset:40
	v_mov_b32_e32 v9, s16
	v_mov_b32_e32 v10, s17
	s_waitcnt vmcnt(0)
	v_readfirstlane_b32 s20, v3
	v_readfirstlane_b32 s21, v4
	s_and_b64 s[20:21], s[20:21], s[16:17]
	s_mul_i32 s21, s21, 24
	s_mul_hi_u32 s22, s20, 24
	s_mul_i32 s20, s20, 24
	s_add_i32 s21, s22, s21
	v_mov_b32_e32 v1, s21
	v_add_co_u32_e32 v3, vcc, s20, v7
	v_addc_co_u32_e32 v4, vcc, v8, v1, vcc
	global_store_dwordx2 v[3:4], v[11:12], off
	s_waitcnt vmcnt(0)
	global_atomic_cmpswap_x2 v[9:10], v2, v[9:12], s[34:35] offset:32 glc
	s_waitcnt vmcnt(0)
	v_cmp_ne_u64_e32 vcc, v[9:10], v[11:12]
	s_and_saveexec_b64 s[20:21], vcc
	s_cbranch_execz .LBB2_1448
; %bb.1446:                             ;   in Loop: Header=BB2_1323 Depth=1
	s_mov_b64 s[22:23], 0
.LBB2_1447:                             ;   Parent Loop BB2_1323 Depth=1
                                        ; =>  This Inner Loop Header: Depth=2
	s_sleep 1
	global_store_dwordx2 v[3:4], v[9:10], off
	v_mov_b32_e32 v7, s16
	v_mov_b32_e32 v8, s17
	s_waitcnt vmcnt(0)
	global_atomic_cmpswap_x2 v[7:8], v2, v[7:10], s[34:35] offset:32 glc
	s_waitcnt vmcnt(0)
	v_cmp_eq_u64_e32 vcc, v[7:8], v[9:10]
	v_mov_b32_e32 v10, v8
	s_or_b64 s[22:23], vcc, s[22:23]
	v_mov_b32_e32 v9, v7
	s_andn2_b64 exec, exec, s[22:23]
	s_cbranch_execnz .LBB2_1447
.LBB2_1448:                             ;   in Loop: Header=BB2_1323 Depth=1
	s_or_b64 exec, exec, s[20:21]
	global_load_dwordx2 v[3:4], v2, s[34:35] offset:16
	s_mov_b64 s[22:23], exec
	v_mbcnt_lo_u32_b32 v1, s22, 0
	v_mbcnt_hi_u32_b32 v1, s23, v1
	v_cmp_eq_u32_e32 vcc, 0, v1
	s_and_saveexec_b64 s[20:21], vcc
	s_cbranch_execz .LBB2_1450
; %bb.1449:                             ;   in Loop: Header=BB2_1323 Depth=1
	s_bcnt1_i32_b64 s22, s[22:23]
	v_mov_b32_e32 v1, s22
	s_waitcnt vmcnt(0)
	global_atomic_add_x2 v[3:4], v[1:2], off offset:8
.LBB2_1450:                             ;   in Loop: Header=BB2_1323 Depth=1
	s_or_b64 exec, exec, s[20:21]
	s_waitcnt vmcnt(0)
	global_load_dwordx2 v[7:8], v[3:4], off offset:16
	s_waitcnt vmcnt(0)
	v_cmp_eq_u64_e32 vcc, 0, v[7:8]
	s_cbranch_vccnz .LBB2_1452
; %bb.1451:                             ;   in Loop: Header=BB2_1323 Depth=1
	global_load_dword v1, v[3:4], off offset:24
	s_waitcnt vmcnt(0)
	v_readfirstlane_b32 s20, v1
	s_and_b32 m0, s20, 0xffffff
	global_store_dwordx2 v[7:8], v[1:2], off
	s_sendmsg sendmsg(MSG_INTERRUPT)
.LBB2_1452:                             ;   in Loop: Header=BB2_1323 Depth=1
	s_or_b64 exec, exec, s[18:19]
	v_add_co_u32_e32 v3, vcc, v17, v37
	v_addc_co_u32_e32 v4, vcc, 0, v18, vcc
	s_branch .LBB2_1456
.LBB2_1453:                             ;   in Loop: Header=BB2_1456 Depth=2
	s_or_b64 exec, exec, s[18:19]
	v_readfirstlane_b32 s18, v1
	s_cmp_eq_u32 s18, 0
	s_cbranch_scc1 .LBB2_1455
; %bb.1454:                             ;   in Loop: Header=BB2_1456 Depth=2
	s_sleep 1
	s_cbranch_execnz .LBB2_1456
	s_branch .LBB2_1458
.LBB2_1455:                             ;   in Loop: Header=BB2_1323 Depth=1
	s_branch .LBB2_1458
.LBB2_1456:                             ;   Parent Loop BB2_1323 Depth=1
                                        ; =>  This Inner Loop Header: Depth=2
	v_mov_b32_e32 v1, 1
	s_and_saveexec_b64 s[18:19], s[4:5]
	s_cbranch_execz .LBB2_1453
; %bb.1457:                             ;   in Loop: Header=BB2_1456 Depth=2
	global_load_dword v1, v[15:16], off offset:20 glc
	s_waitcnt vmcnt(0)
	buffer_wbinvl1_vol
	v_and_b32_e32 v1, 1, v1
	s_branch .LBB2_1453
.LBB2_1458:                             ;   in Loop: Header=BB2_1323 Depth=1
	global_load_dwordx2 v[7:8], v[3:4], off
	s_and_saveexec_b64 s[18:19], s[4:5]
	s_cbranch_execz .LBB2_1462
; %bb.1459:                             ;   in Loop: Header=BB2_1323 Depth=1
	global_load_dwordx2 v[3:4], v2, s[34:35] offset:40
	global_load_dwordx2 v[13:14], v2, s[34:35] offset:24 glc
	global_load_dwordx2 v[9:10], v2, s[34:35]
	s_waitcnt vmcnt(2)
	v_readfirstlane_b32 s20, v3
	v_readfirstlane_b32 s21, v4
	s_add_u32 s22, s20, 1
	s_addc_u32 s23, s21, 0
	s_add_u32 s4, s22, s16
	s_addc_u32 s5, s23, s17
	s_cmp_eq_u64 s[4:5], 0
	s_cselect_b32 s5, s23, s5
	s_cselect_b32 s4, s22, s4
	s_and_b64 s[16:17], s[4:5], s[20:21]
	s_mul_i32 s17, s17, 24
	s_mul_hi_u32 s20, s16, 24
	s_mul_i32 s16, s16, 24
	s_add_i32 s17, s20, s17
	v_mov_b32_e32 v1, s17
	s_waitcnt vmcnt(0)
	v_add_co_u32_e32 v3, vcc, s16, v9
	v_addc_co_u32_e32 v4, vcc, v10, v1, vcc
	v_mov_b32_e32 v11, s4
	global_store_dwordx2 v[3:4], v[13:14], off
	v_mov_b32_e32 v12, s5
	s_waitcnt vmcnt(0)
	global_atomic_cmpswap_x2 v[11:12], v2, v[11:14], s[34:35] offset:24 glc
	s_waitcnt vmcnt(0)
	v_cmp_ne_u64_e32 vcc, v[11:12], v[13:14]
	s_and_b64 exec, exec, vcc
	s_cbranch_execz .LBB2_1462
; %bb.1460:                             ;   in Loop: Header=BB2_1323 Depth=1
	s_mov_b64 s[16:17], 0
.LBB2_1461:                             ;   Parent Loop BB2_1323 Depth=1
                                        ; =>  This Inner Loop Header: Depth=2
	s_sleep 1
	global_store_dwordx2 v[3:4], v[11:12], off
	v_mov_b32_e32 v9, s4
	v_mov_b32_e32 v10, s5
	s_waitcnt vmcnt(0)
	global_atomic_cmpswap_x2 v[9:10], v2, v[9:12], s[34:35] offset:24 glc
	s_waitcnt vmcnt(0)
	v_cmp_eq_u64_e32 vcc, v[9:10], v[11:12]
	v_mov_b32_e32 v12, v10
	s_or_b64 s[16:17], vcc, s[16:17]
	v_mov_b32_e32 v11, v9
	s_andn2_b64 exec, exec, s[16:17]
	s_cbranch_execnz .LBB2_1461
.LBB2_1462:                             ;   in Loop: Header=BB2_1323 Depth=1
	s_or_b64 exec, exec, s[18:19]
.LBB2_1463:                             ;   in Loop: Header=BB2_1323 Depth=1
	s_and_b32 s18, s33, 1
	s_getpc_b64 s[4:5]
	s_add_u32 s4, s4, .str.4@rel32@lo+4
	s_addc_u32 s5, s5, .str.4@rel32@hi+12
	s_getpc_b64 s[16:17]
	s_add_u32 s16, s16, .str.3@rel32@lo+4
	s_addc_u32 s17, s17, .str.3@rel32@hi+12
	s_cmp_eq_u32 s18, 0
	s_cselect_b32 s17, s5, s17
	s_cselect_b32 s16, s4, s16
	s_cmp_lg_u64 s[16:17], 0
	s_cselect_b64 s[4:5], -1, 0
	s_cmp_eq_u64 s[16:17], 0
	s_mov_b64 s[18:19], 0
	s_cbranch_scc1 .LBB2_1467
; %bb.1464:                             ;   in Loop: Header=BB2_1323 Depth=1
	s_add_u32 s18, s16, -1
	s_addc_u32 s19, s17, -1
.LBB2_1465:                             ;   Parent Loop BB2_1323 Depth=1
                                        ; =>  This Inner Loop Header: Depth=2
	global_load_ubyte v1, v2, s[18:19] offset:1
	s_add_u32 s20, s18, 1
	s_addc_u32 s21, s19, 0
	s_mov_b64 s[18:19], s[20:21]
	s_waitcnt vmcnt(0)
	v_cmp_ne_u32_e32 vcc, 0, v1
	s_cbranch_vccnz .LBB2_1465
; %bb.1466:                             ;   in Loop: Header=BB2_1323 Depth=1
	s_sub_u32 s18, s20, s16
	s_subb_u32 s19, s21, s17
	s_add_u32 s18, s18, 1
	s_addc_u32 s19, s19, 0
.LBB2_1467:                             ;   in Loop: Header=BB2_1323 Depth=1
	s_and_b64 vcc, exec, s[4:5]
	s_cbranch_vccz .LBB2_1553
; %bb.1468:                             ;   in Loop: Header=BB2_1323 Depth=1
	s_waitcnt vmcnt(0)
	v_and_b32_e32 v9, -3, v7
	v_mov_b32_e32 v10, v8
	s_branch .LBB2_1470
.LBB2_1469:                             ;   in Loop: Header=BB2_1470 Depth=2
	s_or_b64 exec, exec, s[24:25]
	s_sub_u32 s18, s18, s20
	s_subb_u32 s19, s19, s21
	s_add_u32 s16, s16, s20
	s_addc_u32 s17, s17, s21
	s_cmp_lg_u64 s[18:19], 0
	s_cbranch_scc0 .LBB2_1552
.LBB2_1470:                             ;   Parent Loop BB2_1323 Depth=1
                                        ; =>  This Loop Header: Depth=2
                                        ;       Child Loop BB2_1473 Depth 3
                                        ;       Child Loop BB2_1481 Depth 3
	;; [unrolled: 1-line block ×11, first 2 shown]
	v_cmp_lt_u64_e64 s[4:5], s[18:19], 56
	v_cmp_gt_u64_e64 s[22:23], s[18:19], 7
	s_and_b64 s[4:5], s[4:5], exec
	s_cselect_b32 s21, s19, 0
	s_cselect_b32 s20, s18, 56
	s_add_u32 s4, s16, 8
	s_addc_u32 s5, s17, 0
	s_and_b64 vcc, exec, s[22:23]
	s_cbranch_vccnz .LBB2_1474
; %bb.1471:                             ;   in Loop: Header=BB2_1470 Depth=2
	s_cmp_eq_u64 s[18:19], 0
	s_cbranch_scc1 .LBB2_1475
; %bb.1472:                             ;   in Loop: Header=BB2_1470 Depth=2
	v_mov_b32_e32 v11, 0
	s_lshl_b64 s[4:5], s[20:21], 3
	s_mov_b64 s[22:23], 0
	v_mov_b32_e32 v12, 0
	s_mov_b64 s[24:25], s[16:17]
.LBB2_1473:                             ;   Parent Loop BB2_1323 Depth=1
                                        ;     Parent Loop BB2_1470 Depth=2
                                        ; =>    This Inner Loop Header: Depth=3
	global_load_ubyte v1, v2, s[24:25]
	s_waitcnt vmcnt(0)
	v_and_b32_e32 v1, 0xffff, v1
	v_lshlrev_b64 v[3:4], s22, v[1:2]
	s_add_u32 s22, s22, 8
	s_addc_u32 s23, s23, 0
	s_add_u32 s24, s24, 1
	s_addc_u32 s25, s25, 0
	v_or_b32_e32 v11, v3, v11
	s_cmp_lg_u32 s4, s22
	v_or_b32_e32 v12, v4, v12
	s_cbranch_scc1 .LBB2_1473
	s_branch .LBB2_1476
.LBB2_1474:                             ;   in Loop: Header=BB2_1470 Depth=2
	s_mov_b32 s36, 0
	s_branch .LBB2_1477
.LBB2_1475:                             ;   in Loop: Header=BB2_1470 Depth=2
	v_mov_b32_e32 v11, 0
	v_mov_b32_e32 v12, 0
.LBB2_1476:                             ;   in Loop: Header=BB2_1470 Depth=2
	s_mov_b64 s[4:5], s[16:17]
	s_mov_b32 s36, 0
	s_cbranch_execnz .LBB2_1478
.LBB2_1477:                             ;   in Loop: Header=BB2_1470 Depth=2
	global_load_dwordx2 v[11:12], v2, s[16:17]
	s_add_i32 s36, s20, -8
.LBB2_1478:                             ;   in Loop: Header=BB2_1470 Depth=2
	s_add_u32 s22, s4, 8
	s_addc_u32 s23, s5, 0
	s_cmp_gt_u32 s36, 7
	s_cbranch_scc1 .LBB2_1482
; %bb.1479:                             ;   in Loop: Header=BB2_1470 Depth=2
	s_cmp_eq_u32 s36, 0
	s_cbranch_scc1 .LBB2_1483
; %bb.1480:                             ;   in Loop: Header=BB2_1470 Depth=2
	v_mov_b32_e32 v13, 0
	s_mov_b64 s[22:23], 0
	v_mov_b32_e32 v14, 0
	s_mov_b64 s[24:25], 0
.LBB2_1481:                             ;   Parent Loop BB2_1323 Depth=1
                                        ;     Parent Loop BB2_1470 Depth=2
                                        ; =>    This Inner Loop Header: Depth=3
	s_add_u32 s38, s4, s24
	s_addc_u32 s39, s5, s25
	global_load_ubyte v1, v2, s[38:39]
	s_add_u32 s24, s24, 1
	s_addc_u32 s25, s25, 0
	s_waitcnt vmcnt(0)
	v_and_b32_e32 v1, 0xffff, v1
	v_lshlrev_b64 v[3:4], s22, v[1:2]
	s_add_u32 s22, s22, 8
	s_addc_u32 s23, s23, 0
	v_or_b32_e32 v13, v3, v13
	s_cmp_lg_u32 s36, s24
	v_or_b32_e32 v14, v4, v14
	s_cbranch_scc1 .LBB2_1481
	s_branch .LBB2_1484
.LBB2_1482:                             ;   in Loop: Header=BB2_1470 Depth=2
                                        ; implicit-def: $vgpr13_vgpr14
	s_mov_b32 s37, 0
	s_branch .LBB2_1485
.LBB2_1483:                             ;   in Loop: Header=BB2_1470 Depth=2
	v_mov_b32_e32 v13, 0
	v_mov_b32_e32 v14, 0
.LBB2_1484:                             ;   in Loop: Header=BB2_1470 Depth=2
	s_mov_b64 s[22:23], s[4:5]
	s_mov_b32 s37, 0
	s_cbranch_execnz .LBB2_1486
.LBB2_1485:                             ;   in Loop: Header=BB2_1470 Depth=2
	global_load_dwordx2 v[13:14], v2, s[4:5]
	s_add_i32 s37, s36, -8
.LBB2_1486:                             ;   in Loop: Header=BB2_1470 Depth=2
	s_add_u32 s4, s22, 8
	s_addc_u32 s5, s23, 0
	s_cmp_gt_u32 s37, 7
	s_cbranch_scc1 .LBB2_1490
; %bb.1487:                             ;   in Loop: Header=BB2_1470 Depth=2
	s_cmp_eq_u32 s37, 0
	s_cbranch_scc1 .LBB2_1491
; %bb.1488:                             ;   in Loop: Header=BB2_1470 Depth=2
	v_mov_b32_e32 v15, 0
	s_mov_b64 s[4:5], 0
	v_mov_b32_e32 v16, 0
	s_mov_b64 s[24:25], 0
.LBB2_1489:                             ;   Parent Loop BB2_1323 Depth=1
                                        ;     Parent Loop BB2_1470 Depth=2
                                        ; =>    This Inner Loop Header: Depth=3
	s_add_u32 s38, s22, s24
	s_addc_u32 s39, s23, s25
	global_load_ubyte v1, v2, s[38:39]
	s_add_u32 s24, s24, 1
	s_addc_u32 s25, s25, 0
	s_waitcnt vmcnt(0)
	v_and_b32_e32 v1, 0xffff, v1
	v_lshlrev_b64 v[3:4], s4, v[1:2]
	s_add_u32 s4, s4, 8
	s_addc_u32 s5, s5, 0
	v_or_b32_e32 v15, v3, v15
	s_cmp_lg_u32 s37, s24
	v_or_b32_e32 v16, v4, v16
	s_cbranch_scc1 .LBB2_1489
	s_branch .LBB2_1492
.LBB2_1490:                             ;   in Loop: Header=BB2_1470 Depth=2
	s_mov_b32 s36, 0
	s_branch .LBB2_1493
.LBB2_1491:                             ;   in Loop: Header=BB2_1470 Depth=2
	v_mov_b32_e32 v15, 0
	v_mov_b32_e32 v16, 0
.LBB2_1492:                             ;   in Loop: Header=BB2_1470 Depth=2
	s_mov_b64 s[4:5], s[22:23]
	s_mov_b32 s36, 0
	s_cbranch_execnz .LBB2_1494
.LBB2_1493:                             ;   in Loop: Header=BB2_1470 Depth=2
	global_load_dwordx2 v[15:16], v2, s[22:23]
	s_add_i32 s36, s37, -8
.LBB2_1494:                             ;   in Loop: Header=BB2_1470 Depth=2
	s_add_u32 s22, s4, 8
	s_addc_u32 s23, s5, 0
	s_cmp_gt_u32 s36, 7
	s_cbranch_scc1 .LBB2_1498
; %bb.1495:                             ;   in Loop: Header=BB2_1470 Depth=2
	s_cmp_eq_u32 s36, 0
	s_cbranch_scc1 .LBB2_1499
; %bb.1496:                             ;   in Loop: Header=BB2_1470 Depth=2
	v_mov_b32_e32 v17, 0
	s_mov_b64 s[22:23], 0
	v_mov_b32_e32 v18, 0
	s_mov_b64 s[24:25], 0
.LBB2_1497:                             ;   Parent Loop BB2_1323 Depth=1
                                        ;     Parent Loop BB2_1470 Depth=2
                                        ; =>    This Inner Loop Header: Depth=3
	s_add_u32 s38, s4, s24
	s_addc_u32 s39, s5, s25
	global_load_ubyte v1, v2, s[38:39]
	s_add_u32 s24, s24, 1
	s_addc_u32 s25, s25, 0
	s_waitcnt vmcnt(0)
	v_and_b32_e32 v1, 0xffff, v1
	v_lshlrev_b64 v[3:4], s22, v[1:2]
	s_add_u32 s22, s22, 8
	s_addc_u32 s23, s23, 0
	v_or_b32_e32 v17, v3, v17
	s_cmp_lg_u32 s36, s24
	v_or_b32_e32 v18, v4, v18
	s_cbranch_scc1 .LBB2_1497
	s_branch .LBB2_1500
.LBB2_1498:                             ;   in Loop: Header=BB2_1470 Depth=2
                                        ; implicit-def: $vgpr17_vgpr18
	s_mov_b32 s37, 0
	s_branch .LBB2_1501
.LBB2_1499:                             ;   in Loop: Header=BB2_1470 Depth=2
	v_mov_b32_e32 v17, 0
	v_mov_b32_e32 v18, 0
.LBB2_1500:                             ;   in Loop: Header=BB2_1470 Depth=2
	s_mov_b64 s[22:23], s[4:5]
	s_mov_b32 s37, 0
	s_cbranch_execnz .LBB2_1502
.LBB2_1501:                             ;   in Loop: Header=BB2_1470 Depth=2
	global_load_dwordx2 v[17:18], v2, s[4:5]
	s_add_i32 s37, s36, -8
.LBB2_1502:                             ;   in Loop: Header=BB2_1470 Depth=2
	s_add_u32 s4, s22, 8
	s_addc_u32 s5, s23, 0
	s_cmp_gt_u32 s37, 7
	s_cbranch_scc1 .LBB2_1506
; %bb.1503:                             ;   in Loop: Header=BB2_1470 Depth=2
	s_cmp_eq_u32 s37, 0
	s_cbranch_scc1 .LBB2_1507
; %bb.1504:                             ;   in Loop: Header=BB2_1470 Depth=2
	v_mov_b32_e32 v19, 0
	s_mov_b64 s[4:5], 0
	v_mov_b32_e32 v20, 0
	s_mov_b64 s[24:25], 0
.LBB2_1505:                             ;   Parent Loop BB2_1323 Depth=1
                                        ;     Parent Loop BB2_1470 Depth=2
                                        ; =>    This Inner Loop Header: Depth=3
	s_add_u32 s38, s22, s24
	s_addc_u32 s39, s23, s25
	global_load_ubyte v1, v2, s[38:39]
	s_add_u32 s24, s24, 1
	s_addc_u32 s25, s25, 0
	s_waitcnt vmcnt(0)
	v_and_b32_e32 v1, 0xffff, v1
	v_lshlrev_b64 v[3:4], s4, v[1:2]
	s_add_u32 s4, s4, 8
	s_addc_u32 s5, s5, 0
	v_or_b32_e32 v19, v3, v19
	s_cmp_lg_u32 s37, s24
	v_or_b32_e32 v20, v4, v20
	s_cbranch_scc1 .LBB2_1505
	s_branch .LBB2_1508
.LBB2_1506:                             ;   in Loop: Header=BB2_1470 Depth=2
	s_mov_b32 s36, 0
	s_branch .LBB2_1509
.LBB2_1507:                             ;   in Loop: Header=BB2_1470 Depth=2
	v_mov_b32_e32 v19, 0
	v_mov_b32_e32 v20, 0
.LBB2_1508:                             ;   in Loop: Header=BB2_1470 Depth=2
	s_mov_b64 s[4:5], s[22:23]
	s_mov_b32 s36, 0
	s_cbranch_execnz .LBB2_1510
.LBB2_1509:                             ;   in Loop: Header=BB2_1470 Depth=2
	global_load_dwordx2 v[19:20], v2, s[22:23]
	s_add_i32 s36, s37, -8
.LBB2_1510:                             ;   in Loop: Header=BB2_1470 Depth=2
	s_add_u32 s22, s4, 8
	s_addc_u32 s23, s5, 0
	s_cmp_gt_u32 s36, 7
	s_cbranch_scc1 .LBB2_1514
; %bb.1511:                             ;   in Loop: Header=BB2_1470 Depth=2
	s_cmp_eq_u32 s36, 0
	s_cbranch_scc1 .LBB2_1515
; %bb.1512:                             ;   in Loop: Header=BB2_1470 Depth=2
	v_mov_b32_e32 v21, 0
	s_mov_b64 s[22:23], 0
	v_mov_b32_e32 v22, 0
	s_mov_b64 s[24:25], 0
.LBB2_1513:                             ;   Parent Loop BB2_1323 Depth=1
                                        ;     Parent Loop BB2_1470 Depth=2
                                        ; =>    This Inner Loop Header: Depth=3
	s_add_u32 s38, s4, s24
	s_addc_u32 s39, s5, s25
	global_load_ubyte v1, v2, s[38:39]
	s_add_u32 s24, s24, 1
	s_addc_u32 s25, s25, 0
	s_waitcnt vmcnt(0)
	v_and_b32_e32 v1, 0xffff, v1
	v_lshlrev_b64 v[3:4], s22, v[1:2]
	s_add_u32 s22, s22, 8
	s_addc_u32 s23, s23, 0
	v_or_b32_e32 v21, v3, v21
	s_cmp_lg_u32 s36, s24
	v_or_b32_e32 v22, v4, v22
	s_cbranch_scc1 .LBB2_1513
	s_branch .LBB2_1516
.LBB2_1514:                             ;   in Loop: Header=BB2_1470 Depth=2
                                        ; implicit-def: $vgpr21_vgpr22
	s_mov_b32 s37, 0
	s_branch .LBB2_1517
.LBB2_1515:                             ;   in Loop: Header=BB2_1470 Depth=2
	v_mov_b32_e32 v21, 0
	v_mov_b32_e32 v22, 0
.LBB2_1516:                             ;   in Loop: Header=BB2_1470 Depth=2
	s_mov_b64 s[22:23], s[4:5]
	s_mov_b32 s37, 0
	s_cbranch_execnz .LBB2_1518
.LBB2_1517:                             ;   in Loop: Header=BB2_1470 Depth=2
	global_load_dwordx2 v[21:22], v2, s[4:5]
	s_add_i32 s37, s36, -8
.LBB2_1518:                             ;   in Loop: Header=BB2_1470 Depth=2
	s_cmp_gt_u32 s37, 7
	s_cbranch_scc1 .LBB2_1522
; %bb.1519:                             ;   in Loop: Header=BB2_1470 Depth=2
	s_cmp_eq_u32 s37, 0
	s_cbranch_scc1 .LBB2_1523
; %bb.1520:                             ;   in Loop: Header=BB2_1470 Depth=2
	v_mov_b32_e32 v23, 0
	s_mov_b64 s[4:5], 0
	v_mov_b32_e32 v24, 0
	s_mov_b64 s[24:25], s[22:23]
.LBB2_1521:                             ;   Parent Loop BB2_1323 Depth=1
                                        ;     Parent Loop BB2_1470 Depth=2
                                        ; =>    This Inner Loop Header: Depth=3
	global_load_ubyte v1, v2, s[24:25]
	s_add_i32 s37, s37, -1
	s_waitcnt vmcnt(0)
	v_and_b32_e32 v1, 0xffff, v1
	v_lshlrev_b64 v[3:4], s4, v[1:2]
	s_add_u32 s4, s4, 8
	s_addc_u32 s5, s5, 0
	s_add_u32 s24, s24, 1
	s_addc_u32 s25, s25, 0
	v_or_b32_e32 v23, v3, v23
	s_cmp_lg_u32 s37, 0
	v_or_b32_e32 v24, v4, v24
	s_cbranch_scc1 .LBB2_1521
	s_branch .LBB2_1524
.LBB2_1522:                             ;   in Loop: Header=BB2_1470 Depth=2
	s_branch .LBB2_1525
.LBB2_1523:                             ;   in Loop: Header=BB2_1470 Depth=2
	v_mov_b32_e32 v23, 0
	v_mov_b32_e32 v24, 0
.LBB2_1524:                             ;   in Loop: Header=BB2_1470 Depth=2
	s_cbranch_execnz .LBB2_1526
.LBB2_1525:                             ;   in Loop: Header=BB2_1470 Depth=2
	global_load_dwordx2 v[23:24], v2, s[22:23]
.LBB2_1526:                             ;   in Loop: Header=BB2_1470 Depth=2
	v_readfirstlane_b32 s4, v38
	v_mov_b32_e32 v3, 0
	v_mov_b32_e32 v4, 0
	v_cmp_eq_u32_e64 s[4:5], s4, v38
	s_and_saveexec_b64 s[22:23], s[4:5]
	s_cbranch_execz .LBB2_1532
; %bb.1527:                             ;   in Loop: Header=BB2_1470 Depth=2
	global_load_dwordx2 v[27:28], v2, s[34:35] offset:24 glc
	s_waitcnt vmcnt(0)
	buffer_wbinvl1_vol
	global_load_dwordx2 v[3:4], v2, s[34:35] offset:40
	global_load_dwordx2 v[25:26], v2, s[34:35]
	s_waitcnt vmcnt(1)
	v_and_b32_e32 v1, v3, v27
	v_and_b32_e32 v3, v4, v28
	v_mul_lo_u32 v3, v3, 24
	v_mul_hi_u32 v4, v1, 24
	v_mul_lo_u32 v1, v1, 24
	v_add_u32_e32 v4, v4, v3
	s_waitcnt vmcnt(0)
	v_add_co_u32_e32 v3, vcc, v25, v1
	v_addc_co_u32_e32 v4, vcc, v26, v4, vcc
	global_load_dwordx2 v[25:26], v[3:4], off glc
	s_waitcnt vmcnt(0)
	global_atomic_cmpswap_x2 v[3:4], v2, v[25:28], s[34:35] offset:24 glc
	s_waitcnt vmcnt(0)
	buffer_wbinvl1_vol
	v_cmp_ne_u64_e32 vcc, v[3:4], v[27:28]
	s_and_saveexec_b64 s[24:25], vcc
	s_cbranch_execz .LBB2_1531
; %bb.1528:                             ;   in Loop: Header=BB2_1470 Depth=2
	s_mov_b64 s[36:37], 0
.LBB2_1529:                             ;   Parent Loop BB2_1323 Depth=1
                                        ;     Parent Loop BB2_1470 Depth=2
                                        ; =>    This Inner Loop Header: Depth=3
	s_sleep 1
	global_load_dwordx2 v[25:26], v2, s[34:35] offset:40
	global_load_dwordx2 v[29:30], v2, s[34:35]
	v_mov_b32_e32 v28, v4
	v_mov_b32_e32 v27, v3
	s_waitcnt vmcnt(1)
	v_and_b32_e32 v1, v25, v27
	s_waitcnt vmcnt(0)
	v_mad_u64_u32 v[3:4], s[38:39], v1, 24, v[29:30]
	v_and_b32_e32 v25, v26, v28
	v_mov_b32_e32 v1, v4
	v_mad_u64_u32 v[25:26], s[38:39], v25, 24, v[1:2]
	v_mov_b32_e32 v4, v25
	global_load_dwordx2 v[25:26], v[3:4], off glc
	s_waitcnt vmcnt(0)
	global_atomic_cmpswap_x2 v[3:4], v2, v[25:28], s[34:35] offset:24 glc
	s_waitcnt vmcnt(0)
	buffer_wbinvl1_vol
	v_cmp_eq_u64_e32 vcc, v[3:4], v[27:28]
	s_or_b64 s[36:37], vcc, s[36:37]
	s_andn2_b64 exec, exec, s[36:37]
	s_cbranch_execnz .LBB2_1529
; %bb.1530:                             ;   in Loop: Header=BB2_1470 Depth=2
	s_or_b64 exec, exec, s[36:37]
.LBB2_1531:                             ;   in Loop: Header=BB2_1470 Depth=2
	s_or_b64 exec, exec, s[24:25]
.LBB2_1532:                             ;   in Loop: Header=BB2_1470 Depth=2
	s_or_b64 exec, exec, s[22:23]
	global_load_dwordx2 v[29:30], v2, s[34:35] offset:40
	global_load_dwordx4 v[25:28], v2, s[34:35]
	v_readfirstlane_b32 s23, v4
	v_readfirstlane_b32 s22, v3
	s_mov_b64 s[24:25], exec
	s_waitcnt vmcnt(1)
	v_readfirstlane_b32 s36, v29
	v_readfirstlane_b32 s37, v30
	s_and_b64 s[36:37], s[36:37], s[22:23]
	s_mul_i32 s38, s37, 24
	s_mul_hi_u32 s39, s36, 24
	s_mul_i32 s40, s36, 24
	s_add_i32 s38, s39, s38
	v_mov_b32_e32 v1, s38
	s_waitcnt vmcnt(0)
	v_add_co_u32_e32 v29, vcc, s40, v25
	v_addc_co_u32_e32 v30, vcc, v26, v1, vcc
	s_and_saveexec_b64 s[38:39], s[4:5]
	s_cbranch_execz .LBB2_1534
; %bb.1533:                             ;   in Loop: Header=BB2_1470 Depth=2
	v_mov_b32_e32 v3, s24
	v_mov_b32_e32 v4, s25
	global_store_dwordx4 v[29:30], v[3:6], off offset:8
.LBB2_1534:                             ;   in Loop: Header=BB2_1470 Depth=2
	s_or_b64 exec, exec, s[38:39]
	s_lshl_b64 s[24:25], s[36:37], 12
	v_mov_b32_e32 v1, s25
	v_add_co_u32_e32 v27, vcc, s24, v27
	v_addc_co_u32_e32 v28, vcc, v28, v1, vcc
	v_cmp_lt_u64_e64 vcc, s[18:19], 57
	v_and_b32_e32 v1, 2, v7
	s_lshl_b32 s24, s20, 2
	v_cndmask_b32_e32 v1, 0, v1, vcc
	s_add_i32 s24, s24, 28
	v_and_b32_e32 v3, 0xffffff1f, v9
	s_and_b32 s24, s24, 0x1e0
	v_or_b32_e32 v1, v3, v1
	v_or_b32_e32 v9, s24, v1
	v_readfirstlane_b32 s24, v27
	v_readfirstlane_b32 s25, v28
	s_nop 4
	global_store_dwordx4 v37, v[9:12], s[24:25]
	global_store_dwordx4 v37, v[13:16], s[24:25] offset:16
	global_store_dwordx4 v37, v[17:20], s[24:25] offset:32
	;; [unrolled: 1-line block ×3, first 2 shown]
	s_and_saveexec_b64 s[24:25], s[4:5]
	s_cbranch_execz .LBB2_1542
; %bb.1535:                             ;   in Loop: Header=BB2_1470 Depth=2
	global_load_dwordx2 v[13:14], v2, s[34:35] offset:32 glc
	global_load_dwordx2 v[3:4], v2, s[34:35] offset:40
	v_mov_b32_e32 v11, s22
	v_mov_b32_e32 v12, s23
	s_waitcnt vmcnt(0)
	v_readfirstlane_b32 s36, v3
	v_readfirstlane_b32 s37, v4
	s_and_b64 s[36:37], s[36:37], s[22:23]
	s_mul_i32 s37, s37, 24
	s_mul_hi_u32 s38, s36, 24
	s_mul_i32 s36, s36, 24
	s_add_i32 s37, s38, s37
	v_mov_b32_e32 v1, s37
	v_add_co_u32_e32 v3, vcc, s36, v25
	v_addc_co_u32_e32 v4, vcc, v26, v1, vcc
	global_store_dwordx2 v[3:4], v[13:14], off
	s_waitcnt vmcnt(0)
	global_atomic_cmpswap_x2 v[11:12], v2, v[11:14], s[34:35] offset:32 glc
	s_waitcnt vmcnt(0)
	v_cmp_ne_u64_e32 vcc, v[11:12], v[13:14]
	s_and_saveexec_b64 s[36:37], vcc
	s_cbranch_execz .LBB2_1538
; %bb.1536:                             ;   in Loop: Header=BB2_1470 Depth=2
	s_mov_b64 s[38:39], 0
.LBB2_1537:                             ;   Parent Loop BB2_1323 Depth=1
                                        ;     Parent Loop BB2_1470 Depth=2
                                        ; =>    This Inner Loop Header: Depth=3
	s_sleep 1
	global_store_dwordx2 v[3:4], v[11:12], off
	v_mov_b32_e32 v9, s22
	v_mov_b32_e32 v10, s23
	s_waitcnt vmcnt(0)
	global_atomic_cmpswap_x2 v[9:10], v2, v[9:12], s[34:35] offset:32 glc
	s_waitcnt vmcnt(0)
	v_cmp_eq_u64_e32 vcc, v[9:10], v[11:12]
	v_mov_b32_e32 v12, v10
	s_or_b64 s[38:39], vcc, s[38:39]
	v_mov_b32_e32 v11, v9
	s_andn2_b64 exec, exec, s[38:39]
	s_cbranch_execnz .LBB2_1537
.LBB2_1538:                             ;   in Loop: Header=BB2_1470 Depth=2
	s_or_b64 exec, exec, s[36:37]
	global_load_dwordx2 v[3:4], v2, s[34:35] offset:16
	s_mov_b64 s[38:39], exec
	v_mbcnt_lo_u32_b32 v1, s38, 0
	v_mbcnt_hi_u32_b32 v1, s39, v1
	v_cmp_eq_u32_e32 vcc, 0, v1
	s_and_saveexec_b64 s[36:37], vcc
	s_cbranch_execz .LBB2_1540
; %bb.1539:                             ;   in Loop: Header=BB2_1470 Depth=2
	s_bcnt1_i32_b64 s38, s[38:39]
	v_mov_b32_e32 v1, s38
	s_waitcnt vmcnt(0)
	global_atomic_add_x2 v[3:4], v[1:2], off offset:8
.LBB2_1540:                             ;   in Loop: Header=BB2_1470 Depth=2
	s_or_b64 exec, exec, s[36:37]
	s_waitcnt vmcnt(0)
	global_load_dwordx2 v[9:10], v[3:4], off offset:16
	s_waitcnt vmcnt(0)
	v_cmp_eq_u64_e32 vcc, 0, v[9:10]
	s_cbranch_vccnz .LBB2_1542
; %bb.1541:                             ;   in Loop: Header=BB2_1470 Depth=2
	global_load_dword v1, v[3:4], off offset:24
	s_waitcnt vmcnt(0)
	v_readfirstlane_b32 s36, v1
	s_and_b32 m0, s36, 0xffffff
	global_store_dwordx2 v[9:10], v[1:2], off
	s_sendmsg sendmsg(MSG_INTERRUPT)
.LBB2_1542:                             ;   in Loop: Header=BB2_1470 Depth=2
	s_or_b64 exec, exec, s[24:25]
	v_add_co_u32_e32 v3, vcc, v27, v37
	v_addc_co_u32_e32 v4, vcc, 0, v28, vcc
	s_branch .LBB2_1546
.LBB2_1543:                             ;   in Loop: Header=BB2_1546 Depth=3
	s_or_b64 exec, exec, s[24:25]
	v_readfirstlane_b32 s24, v1
	s_cmp_eq_u32 s24, 0
	s_cbranch_scc1 .LBB2_1545
; %bb.1544:                             ;   in Loop: Header=BB2_1546 Depth=3
	s_sleep 1
	s_cbranch_execnz .LBB2_1546
	s_branch .LBB2_1548
.LBB2_1545:                             ;   in Loop: Header=BB2_1470 Depth=2
	s_branch .LBB2_1548
.LBB2_1546:                             ;   Parent Loop BB2_1323 Depth=1
                                        ;     Parent Loop BB2_1470 Depth=2
                                        ; =>    This Inner Loop Header: Depth=3
	v_mov_b32_e32 v1, 1
	s_and_saveexec_b64 s[24:25], s[4:5]
	s_cbranch_execz .LBB2_1543
; %bb.1547:                             ;   in Loop: Header=BB2_1546 Depth=3
	global_load_dword v1, v[29:30], off offset:20 glc
	s_waitcnt vmcnt(0)
	buffer_wbinvl1_vol
	v_and_b32_e32 v1, 1, v1
	s_branch .LBB2_1543
.LBB2_1548:                             ;   in Loop: Header=BB2_1470 Depth=2
	global_load_dwordx2 v[9:10], v[3:4], off
	s_and_saveexec_b64 s[24:25], s[4:5]
	s_cbranch_execz .LBB2_1469
; %bb.1549:                             ;   in Loop: Header=BB2_1470 Depth=2
	global_load_dwordx2 v[3:4], v2, s[34:35] offset:40
	global_load_dwordx2 v[15:16], v2, s[34:35] offset:24 glc
	global_load_dwordx2 v[11:12], v2, s[34:35]
	s_waitcnt vmcnt(2)
	v_readfirstlane_b32 s36, v3
	v_readfirstlane_b32 s37, v4
	s_add_u32 s38, s36, 1
	s_addc_u32 s39, s37, 0
	s_add_u32 s4, s38, s22
	s_addc_u32 s5, s39, s23
	s_cmp_eq_u64 s[4:5], 0
	s_cselect_b32 s5, s39, s5
	s_cselect_b32 s4, s38, s4
	s_and_b64 s[22:23], s[4:5], s[36:37]
	s_mul_i32 s23, s23, 24
	s_mul_hi_u32 s36, s22, 24
	s_mul_i32 s22, s22, 24
	s_add_i32 s23, s36, s23
	v_mov_b32_e32 v1, s23
	s_waitcnt vmcnt(0)
	v_add_co_u32_e32 v3, vcc, s22, v11
	v_addc_co_u32_e32 v4, vcc, v12, v1, vcc
	v_mov_b32_e32 v13, s4
	global_store_dwordx2 v[3:4], v[15:16], off
	v_mov_b32_e32 v14, s5
	s_waitcnt vmcnt(0)
	global_atomic_cmpswap_x2 v[13:14], v2, v[13:16], s[34:35] offset:24 glc
	s_waitcnt vmcnt(0)
	v_cmp_ne_u64_e32 vcc, v[13:14], v[15:16]
	s_and_b64 exec, exec, vcc
	s_cbranch_execz .LBB2_1469
; %bb.1550:                             ;   in Loop: Header=BB2_1470 Depth=2
	s_mov_b64 s[22:23], 0
.LBB2_1551:                             ;   Parent Loop BB2_1323 Depth=1
                                        ;     Parent Loop BB2_1470 Depth=2
                                        ; =>    This Inner Loop Header: Depth=3
	s_sleep 1
	global_store_dwordx2 v[3:4], v[13:14], off
	v_mov_b32_e32 v11, s4
	v_mov_b32_e32 v12, s5
	s_waitcnt vmcnt(0)
	global_atomic_cmpswap_x2 v[11:12], v2, v[11:14], s[34:35] offset:24 glc
	s_waitcnt vmcnt(0)
	v_cmp_eq_u64_e32 vcc, v[11:12], v[13:14]
	v_mov_b32_e32 v14, v12
	s_or_b64 s[22:23], vcc, s[22:23]
	v_mov_b32_e32 v13, v11
	s_andn2_b64 exec, exec, s[22:23]
	s_cbranch_execnz .LBB2_1551
	s_branch .LBB2_1469
.LBB2_1552:                             ;   in Loop: Header=BB2_1323 Depth=1
	s_branch .LBB2_1581
.LBB2_1553:                             ;   in Loop: Header=BB2_1323 Depth=1
                                        ; implicit-def: $vgpr9_vgpr10
	s_cbranch_execz .LBB2_1581
; %bb.1554:                             ;   in Loop: Header=BB2_1323 Depth=1
	v_readfirstlane_b32 s4, v38
	v_mov_b32_e32 v3, 0
	v_mov_b32_e32 v4, 0
	v_cmp_eq_u32_e64 s[4:5], s4, v38
	s_and_saveexec_b64 s[16:17], s[4:5]
	s_cbranch_execz .LBB2_1560
; %bb.1555:                             ;   in Loop: Header=BB2_1323 Depth=1
	global_load_dwordx2 v[11:12], v2, s[34:35] offset:24 glc
	s_waitcnt vmcnt(0)
	buffer_wbinvl1_vol
	global_load_dwordx2 v[3:4], v2, s[34:35] offset:40
	global_load_dwordx2 v[9:10], v2, s[34:35]
	s_waitcnt vmcnt(1)
	v_and_b32_e32 v1, v3, v11
	v_and_b32_e32 v3, v4, v12
	v_mul_lo_u32 v3, v3, 24
	v_mul_hi_u32 v4, v1, 24
	v_mul_lo_u32 v1, v1, 24
	v_add_u32_e32 v4, v4, v3
	s_waitcnt vmcnt(0)
	v_add_co_u32_e32 v3, vcc, v9, v1
	v_addc_co_u32_e32 v4, vcc, v10, v4, vcc
	global_load_dwordx2 v[9:10], v[3:4], off glc
	s_waitcnt vmcnt(0)
	global_atomic_cmpswap_x2 v[3:4], v2, v[9:12], s[34:35] offset:24 glc
	s_waitcnt vmcnt(0)
	buffer_wbinvl1_vol
	v_cmp_ne_u64_e32 vcc, v[3:4], v[11:12]
	s_and_saveexec_b64 s[18:19], vcc
	s_cbranch_execz .LBB2_1559
; %bb.1556:                             ;   in Loop: Header=BB2_1323 Depth=1
	s_mov_b64 s[20:21], 0
.LBB2_1557:                             ;   Parent Loop BB2_1323 Depth=1
                                        ; =>  This Inner Loop Header: Depth=2
	s_sleep 1
	global_load_dwordx2 v[9:10], v2, s[34:35] offset:40
	global_load_dwordx2 v[13:14], v2, s[34:35]
	v_mov_b32_e32 v12, v4
	v_mov_b32_e32 v11, v3
	s_waitcnt vmcnt(1)
	v_and_b32_e32 v1, v9, v11
	s_waitcnt vmcnt(0)
	v_mad_u64_u32 v[3:4], s[22:23], v1, 24, v[13:14]
	v_and_b32_e32 v9, v10, v12
	v_mov_b32_e32 v1, v4
	v_mad_u64_u32 v[9:10], s[22:23], v9, 24, v[1:2]
	v_mov_b32_e32 v4, v9
	global_load_dwordx2 v[9:10], v[3:4], off glc
	s_waitcnt vmcnt(0)
	global_atomic_cmpswap_x2 v[3:4], v2, v[9:12], s[34:35] offset:24 glc
	s_waitcnt vmcnt(0)
	buffer_wbinvl1_vol
	v_cmp_eq_u64_e32 vcc, v[3:4], v[11:12]
	s_or_b64 s[20:21], vcc, s[20:21]
	s_andn2_b64 exec, exec, s[20:21]
	s_cbranch_execnz .LBB2_1557
; %bb.1558:                             ;   in Loop: Header=BB2_1323 Depth=1
	s_or_b64 exec, exec, s[20:21]
.LBB2_1559:                             ;   in Loop: Header=BB2_1323 Depth=1
	s_or_b64 exec, exec, s[18:19]
.LBB2_1560:                             ;   in Loop: Header=BB2_1323 Depth=1
	s_or_b64 exec, exec, s[16:17]
	global_load_dwordx2 v[9:10], v2, s[34:35] offset:40
	global_load_dwordx4 v[11:14], v2, s[34:35]
	v_readfirstlane_b32 s17, v4
	v_readfirstlane_b32 s16, v3
	s_mov_b64 s[18:19], exec
	s_waitcnt vmcnt(1)
	v_readfirstlane_b32 s20, v9
	v_readfirstlane_b32 s21, v10
	s_and_b64 s[20:21], s[20:21], s[16:17]
	s_mul_i32 s22, s21, 24
	s_mul_hi_u32 s23, s20, 24
	s_mul_i32 s24, s20, 24
	s_add_i32 s22, s23, s22
	v_mov_b32_e32 v1, s22
	s_waitcnt vmcnt(0)
	v_add_co_u32_e32 v15, vcc, s24, v11
	v_addc_co_u32_e32 v16, vcc, v12, v1, vcc
	s_and_saveexec_b64 s[22:23], s[4:5]
	s_cbranch_execz .LBB2_1562
; %bb.1561:                             ;   in Loop: Header=BB2_1323 Depth=1
	v_mov_b32_e32 v3, s18
	v_mov_b32_e32 v4, s19
	global_store_dwordx4 v[15:16], v[3:6], off offset:8
.LBB2_1562:                             ;   in Loop: Header=BB2_1323 Depth=1
	s_or_b64 exec, exec, s[22:23]
	s_lshl_b64 s[18:19], s[20:21], 12
	v_mov_b32_e32 v1, s19
	v_add_co_u32_e32 v13, vcc, s18, v13
	v_addc_co_u32_e32 v14, vcc, v14, v1, vcc
	v_and_or_b32 v7, v7, s29, 32
	v_mov_b32_e32 v9, v2
	v_mov_b32_e32 v10, v2
	v_readfirstlane_b32 s18, v13
	v_readfirstlane_b32 s19, v14
	s_nop 4
	global_store_dwordx4 v37, v[7:10], s[18:19]
	s_nop 0
	v_mov_b32_e32 v7, s8
	v_mov_b32_e32 v8, s9
	;; [unrolled: 1-line block ×4, first 2 shown]
	global_store_dwordx4 v37, v[7:10], s[18:19] offset:16
	global_store_dwordx4 v37, v[7:10], s[18:19] offset:32
	;; [unrolled: 1-line block ×3, first 2 shown]
	s_and_saveexec_b64 s[18:19], s[4:5]
	s_cbranch_execz .LBB2_1570
; %bb.1563:                             ;   in Loop: Header=BB2_1323 Depth=1
	global_load_dwordx2 v[19:20], v2, s[34:35] offset:32 glc
	global_load_dwordx2 v[3:4], v2, s[34:35] offset:40
	v_mov_b32_e32 v17, s16
	v_mov_b32_e32 v18, s17
	s_waitcnt vmcnt(0)
	v_readfirstlane_b32 s20, v3
	v_readfirstlane_b32 s21, v4
	s_and_b64 s[20:21], s[20:21], s[16:17]
	s_mul_i32 s21, s21, 24
	s_mul_hi_u32 s22, s20, 24
	s_mul_i32 s20, s20, 24
	s_add_i32 s21, s22, s21
	v_mov_b32_e32 v1, s21
	v_add_co_u32_e32 v3, vcc, s20, v11
	v_addc_co_u32_e32 v4, vcc, v12, v1, vcc
	global_store_dwordx2 v[3:4], v[19:20], off
	s_waitcnt vmcnt(0)
	global_atomic_cmpswap_x2 v[9:10], v2, v[17:20], s[34:35] offset:32 glc
	s_waitcnt vmcnt(0)
	v_cmp_ne_u64_e32 vcc, v[9:10], v[19:20]
	s_and_saveexec_b64 s[20:21], vcc
	s_cbranch_execz .LBB2_1566
; %bb.1564:                             ;   in Loop: Header=BB2_1323 Depth=1
	s_mov_b64 s[22:23], 0
.LBB2_1565:                             ;   Parent Loop BB2_1323 Depth=1
                                        ; =>  This Inner Loop Header: Depth=2
	s_sleep 1
	global_store_dwordx2 v[3:4], v[9:10], off
	v_mov_b32_e32 v7, s16
	v_mov_b32_e32 v8, s17
	s_waitcnt vmcnt(0)
	global_atomic_cmpswap_x2 v[7:8], v2, v[7:10], s[34:35] offset:32 glc
	s_waitcnt vmcnt(0)
	v_cmp_eq_u64_e32 vcc, v[7:8], v[9:10]
	v_mov_b32_e32 v10, v8
	s_or_b64 s[22:23], vcc, s[22:23]
	v_mov_b32_e32 v9, v7
	s_andn2_b64 exec, exec, s[22:23]
	s_cbranch_execnz .LBB2_1565
.LBB2_1566:                             ;   in Loop: Header=BB2_1323 Depth=1
	s_or_b64 exec, exec, s[20:21]
	global_load_dwordx2 v[3:4], v2, s[34:35] offset:16
	s_mov_b64 s[22:23], exec
	v_mbcnt_lo_u32_b32 v1, s22, 0
	v_mbcnt_hi_u32_b32 v1, s23, v1
	v_cmp_eq_u32_e32 vcc, 0, v1
	s_and_saveexec_b64 s[20:21], vcc
	s_cbranch_execz .LBB2_1568
; %bb.1567:                             ;   in Loop: Header=BB2_1323 Depth=1
	s_bcnt1_i32_b64 s22, s[22:23]
	v_mov_b32_e32 v1, s22
	s_waitcnt vmcnt(0)
	global_atomic_add_x2 v[3:4], v[1:2], off offset:8
.LBB2_1568:                             ;   in Loop: Header=BB2_1323 Depth=1
	s_or_b64 exec, exec, s[20:21]
	s_waitcnt vmcnt(0)
	global_load_dwordx2 v[7:8], v[3:4], off offset:16
	s_waitcnt vmcnt(0)
	v_cmp_eq_u64_e32 vcc, 0, v[7:8]
	s_cbranch_vccnz .LBB2_1570
; %bb.1569:                             ;   in Loop: Header=BB2_1323 Depth=1
	global_load_dword v1, v[3:4], off offset:24
	s_waitcnt vmcnt(0)
	v_readfirstlane_b32 s20, v1
	s_and_b32 m0, s20, 0xffffff
	global_store_dwordx2 v[7:8], v[1:2], off
	s_sendmsg sendmsg(MSG_INTERRUPT)
.LBB2_1570:                             ;   in Loop: Header=BB2_1323 Depth=1
	s_or_b64 exec, exec, s[18:19]
	v_add_co_u32_e32 v3, vcc, v13, v37
	v_addc_co_u32_e32 v4, vcc, 0, v14, vcc
	s_branch .LBB2_1574
.LBB2_1571:                             ;   in Loop: Header=BB2_1574 Depth=2
	s_or_b64 exec, exec, s[18:19]
	v_readfirstlane_b32 s18, v1
	s_cmp_eq_u32 s18, 0
	s_cbranch_scc1 .LBB2_1573
; %bb.1572:                             ;   in Loop: Header=BB2_1574 Depth=2
	s_sleep 1
	s_cbranch_execnz .LBB2_1574
	s_branch .LBB2_1576
.LBB2_1573:                             ;   in Loop: Header=BB2_1323 Depth=1
	s_branch .LBB2_1576
.LBB2_1574:                             ;   Parent Loop BB2_1323 Depth=1
                                        ; =>  This Inner Loop Header: Depth=2
	v_mov_b32_e32 v1, 1
	s_and_saveexec_b64 s[18:19], s[4:5]
	s_cbranch_execz .LBB2_1571
; %bb.1575:                             ;   in Loop: Header=BB2_1574 Depth=2
	global_load_dword v1, v[15:16], off offset:20 glc
	s_waitcnt vmcnt(0)
	buffer_wbinvl1_vol
	v_and_b32_e32 v1, 1, v1
	s_branch .LBB2_1571
.LBB2_1576:                             ;   in Loop: Header=BB2_1323 Depth=1
	global_load_dwordx2 v[9:10], v[3:4], off
	s_and_saveexec_b64 s[18:19], s[4:5]
	s_cbranch_execz .LBB2_1580
; %bb.1577:                             ;   in Loop: Header=BB2_1323 Depth=1
	global_load_dwordx2 v[3:4], v2, s[34:35] offset:40
	global_load_dwordx2 v[15:16], v2, s[34:35] offset:24 glc
	global_load_dwordx2 v[7:8], v2, s[34:35]
	s_waitcnt vmcnt(2)
	v_readfirstlane_b32 s20, v3
	v_readfirstlane_b32 s21, v4
	s_add_u32 s22, s20, 1
	s_addc_u32 s23, s21, 0
	s_add_u32 s4, s22, s16
	s_addc_u32 s5, s23, s17
	s_cmp_eq_u64 s[4:5], 0
	s_cselect_b32 s5, s23, s5
	s_cselect_b32 s4, s22, s4
	s_and_b64 s[16:17], s[4:5], s[20:21]
	s_mul_i32 s17, s17, 24
	s_mul_hi_u32 s20, s16, 24
	s_mul_i32 s16, s16, 24
	s_add_i32 s17, s20, s17
	v_mov_b32_e32 v1, s17
	s_waitcnt vmcnt(0)
	v_add_co_u32_e32 v3, vcc, s16, v7
	v_addc_co_u32_e32 v4, vcc, v8, v1, vcc
	v_mov_b32_e32 v13, s4
	global_store_dwordx2 v[3:4], v[15:16], off
	v_mov_b32_e32 v14, s5
	s_waitcnt vmcnt(0)
	global_atomic_cmpswap_x2 v[13:14], v2, v[13:16], s[34:35] offset:24 glc
	s_waitcnt vmcnt(0)
	v_cmp_ne_u64_e32 vcc, v[13:14], v[15:16]
	s_and_b64 exec, exec, vcc
	s_cbranch_execz .LBB2_1580
; %bb.1578:                             ;   in Loop: Header=BB2_1323 Depth=1
	s_mov_b64 s[16:17], 0
.LBB2_1579:                             ;   Parent Loop BB2_1323 Depth=1
                                        ; =>  This Inner Loop Header: Depth=2
	s_sleep 1
	global_store_dwordx2 v[3:4], v[13:14], off
	v_mov_b32_e32 v11, s4
	v_mov_b32_e32 v12, s5
	s_waitcnt vmcnt(0)
	global_atomic_cmpswap_x2 v[7:8], v2, v[11:14], s[34:35] offset:24 glc
	s_waitcnt vmcnt(0)
	v_cmp_eq_u64_e32 vcc, v[7:8], v[13:14]
	v_mov_b32_e32 v14, v8
	s_or_b64 s[16:17], vcc, s[16:17]
	v_mov_b32_e32 v13, v7
	s_andn2_b64 exec, exec, s[16:17]
	s_cbranch_execnz .LBB2_1579
.LBB2_1580:                             ;   in Loop: Header=BB2_1323 Depth=1
	s_or_b64 exec, exec, s[18:19]
.LBB2_1581:                             ;   in Loop: Header=BB2_1323 Depth=1
	v_readfirstlane_b32 s4, v38
	v_mov_b32_e32 v3, 0
	v_mov_b32_e32 v4, 0
	v_cmp_eq_u32_e64 s[4:5], s4, v38
	s_and_saveexec_b64 s[16:17], s[4:5]
	s_cbranch_execz .LBB2_1587
; %bb.1582:                             ;   in Loop: Header=BB2_1323 Depth=1
	global_load_dwordx2 v[13:14], v2, s[34:35] offset:24 glc
	s_waitcnt vmcnt(0)
	buffer_wbinvl1_vol
	global_load_dwordx2 v[3:4], v2, s[34:35] offset:40
	global_load_dwordx2 v[7:8], v2, s[34:35]
	s_waitcnt vmcnt(1)
	v_and_b32_e32 v1, v3, v13
	v_and_b32_e32 v3, v4, v14
	v_mul_lo_u32 v3, v3, 24
	v_mul_hi_u32 v4, v1, 24
	v_mul_lo_u32 v1, v1, 24
	v_add_u32_e32 v4, v4, v3
	s_waitcnt vmcnt(0)
	v_add_co_u32_e32 v3, vcc, v7, v1
	v_addc_co_u32_e32 v4, vcc, v8, v4, vcc
	global_load_dwordx2 v[11:12], v[3:4], off glc
	s_waitcnt vmcnt(0)
	global_atomic_cmpswap_x2 v[3:4], v2, v[11:14], s[34:35] offset:24 glc
	s_waitcnt vmcnt(0)
	buffer_wbinvl1_vol
	v_cmp_ne_u64_e32 vcc, v[3:4], v[13:14]
	s_and_saveexec_b64 s[18:19], vcc
	s_cbranch_execz .LBB2_1586
; %bb.1583:                             ;   in Loop: Header=BB2_1323 Depth=1
	s_mov_b64 s[20:21], 0
.LBB2_1584:                             ;   Parent Loop BB2_1323 Depth=1
                                        ; =>  This Inner Loop Header: Depth=2
	s_sleep 1
	global_load_dwordx2 v[7:8], v2, s[34:35] offset:40
	global_load_dwordx2 v[11:12], v2, s[34:35]
	v_mov_b32_e32 v14, v4
	v_mov_b32_e32 v13, v3
	s_waitcnt vmcnt(1)
	v_and_b32_e32 v1, v7, v13
	s_waitcnt vmcnt(0)
	v_mad_u64_u32 v[3:4], s[22:23], v1, 24, v[11:12]
	v_and_b32_e32 v7, v8, v14
	v_mov_b32_e32 v1, v4
	v_mad_u64_u32 v[7:8], s[22:23], v7, 24, v[1:2]
	v_mov_b32_e32 v4, v7
	global_load_dwordx2 v[11:12], v[3:4], off glc
	s_waitcnt vmcnt(0)
	global_atomic_cmpswap_x2 v[3:4], v2, v[11:14], s[34:35] offset:24 glc
	s_waitcnt vmcnt(0)
	buffer_wbinvl1_vol
	v_cmp_eq_u64_e32 vcc, v[3:4], v[13:14]
	s_or_b64 s[20:21], vcc, s[20:21]
	s_andn2_b64 exec, exec, s[20:21]
	s_cbranch_execnz .LBB2_1584
; %bb.1585:                             ;   in Loop: Header=BB2_1323 Depth=1
	s_or_b64 exec, exec, s[20:21]
.LBB2_1586:                             ;   in Loop: Header=BB2_1323 Depth=1
	s_or_b64 exec, exec, s[18:19]
.LBB2_1587:                             ;   in Loop: Header=BB2_1323 Depth=1
	s_or_b64 exec, exec, s[16:17]
	global_load_dwordx2 v[7:8], v2, s[34:35] offset:40
	global_load_dwordx4 v[13:16], v2, s[34:35]
	v_readfirstlane_b32 s17, v4
	v_readfirstlane_b32 s16, v3
	s_mov_b64 s[18:19], exec
	s_waitcnt vmcnt(1)
	v_readfirstlane_b32 s20, v7
	v_readfirstlane_b32 s21, v8
	s_and_b64 s[20:21], s[20:21], s[16:17]
	s_mul_i32 s22, s21, 24
	s_mul_hi_u32 s23, s20, 24
	s_mul_i32 s24, s20, 24
	s_add_i32 s22, s23, s22
	v_mov_b32_e32 v1, s22
	s_waitcnt vmcnt(0)
	v_add_co_u32_e32 v17, vcc, s24, v13
	v_addc_co_u32_e32 v18, vcc, v14, v1, vcc
	s_and_saveexec_b64 s[22:23], s[4:5]
	s_cbranch_execz .LBB2_1589
; %bb.1588:                             ;   in Loop: Header=BB2_1323 Depth=1
	v_mov_b32_e32 v3, s18
	v_mov_b32_e32 v4, s19
	global_store_dwordx4 v[17:18], v[3:6], off offset:8
.LBB2_1589:                             ;   in Loop: Header=BB2_1323 Depth=1
	s_or_b64 exec, exec, s[22:23]
	s_lshl_b64 s[18:19], s[20:21], 12
	v_mov_b32_e32 v1, s19
	v_add_co_u32_e32 v3, vcc, s18, v15
	v_addc_co_u32_e32 v1, vcc, v16, v1, vcc
	s_ashr_i32 s18, s33, 1
	v_and_or_b32 v9, v9, s31, 34
	v_mov_b32_e32 v11, s18
	v_mov_b32_e32 v12, v2
	v_readfirstlane_b32 s18, v3
	v_readfirstlane_b32 s19, v1
	s_nop 4
	global_store_dwordx4 v37, v[9:12], s[18:19]
	v_mov_b32_e32 v7, s8
	v_mov_b32_e32 v8, s9
	;; [unrolled: 1-line block ×4, first 2 shown]
	global_store_dwordx4 v37, v[7:10], s[18:19] offset:16
	global_store_dwordx4 v37, v[7:10], s[18:19] offset:32
	;; [unrolled: 1-line block ×3, first 2 shown]
	s_and_saveexec_b64 s[18:19], s[4:5]
	s_cbranch_execz .LBB2_1597
; %bb.1590:                             ;   in Loop: Header=BB2_1323 Depth=1
	global_load_dwordx2 v[11:12], v2, s[34:35] offset:32 glc
	global_load_dwordx2 v[3:4], v2, s[34:35] offset:40
	v_mov_b32_e32 v9, s16
	v_mov_b32_e32 v10, s17
	s_waitcnt vmcnt(0)
	v_readfirstlane_b32 s20, v3
	v_readfirstlane_b32 s21, v4
	s_and_b64 s[20:21], s[20:21], s[16:17]
	s_mul_i32 s21, s21, 24
	s_mul_hi_u32 s22, s20, 24
	s_mul_i32 s20, s20, 24
	s_add_i32 s21, s22, s21
	v_mov_b32_e32 v1, s21
	v_add_co_u32_e32 v3, vcc, s20, v13
	v_addc_co_u32_e32 v4, vcc, v14, v1, vcc
	global_store_dwordx2 v[3:4], v[11:12], off
	s_waitcnt vmcnt(0)
	global_atomic_cmpswap_x2 v[9:10], v2, v[9:12], s[34:35] offset:32 glc
	s_waitcnt vmcnt(0)
	v_cmp_ne_u64_e32 vcc, v[9:10], v[11:12]
	s_and_saveexec_b64 s[20:21], vcc
	s_cbranch_execz .LBB2_1593
; %bb.1591:                             ;   in Loop: Header=BB2_1323 Depth=1
	s_mov_b64 s[22:23], 0
.LBB2_1592:                             ;   Parent Loop BB2_1323 Depth=1
                                        ; =>  This Inner Loop Header: Depth=2
	s_sleep 1
	global_store_dwordx2 v[3:4], v[9:10], off
	v_mov_b32_e32 v7, s16
	v_mov_b32_e32 v8, s17
	s_waitcnt vmcnt(0)
	global_atomic_cmpswap_x2 v[7:8], v2, v[7:10], s[34:35] offset:32 glc
	s_waitcnt vmcnt(0)
	v_cmp_eq_u64_e32 vcc, v[7:8], v[9:10]
	v_mov_b32_e32 v10, v8
	s_or_b64 s[22:23], vcc, s[22:23]
	v_mov_b32_e32 v9, v7
	s_andn2_b64 exec, exec, s[22:23]
	s_cbranch_execnz .LBB2_1592
.LBB2_1593:                             ;   in Loop: Header=BB2_1323 Depth=1
	s_or_b64 exec, exec, s[20:21]
	global_load_dwordx2 v[3:4], v2, s[34:35] offset:16
	s_mov_b64 s[22:23], exec
	v_mbcnt_lo_u32_b32 v1, s22, 0
	v_mbcnt_hi_u32_b32 v1, s23, v1
	v_cmp_eq_u32_e32 vcc, 0, v1
	s_and_saveexec_b64 s[20:21], vcc
	s_cbranch_execz .LBB2_1595
; %bb.1594:                             ;   in Loop: Header=BB2_1323 Depth=1
	s_bcnt1_i32_b64 s22, s[22:23]
	v_mov_b32_e32 v1, s22
	s_waitcnt vmcnt(0)
	global_atomic_add_x2 v[3:4], v[1:2], off offset:8
.LBB2_1595:                             ;   in Loop: Header=BB2_1323 Depth=1
	s_or_b64 exec, exec, s[20:21]
	s_waitcnt vmcnt(0)
	global_load_dwordx2 v[7:8], v[3:4], off offset:16
	s_waitcnt vmcnt(0)
	v_cmp_eq_u64_e32 vcc, 0, v[7:8]
	s_cbranch_vccnz .LBB2_1597
; %bb.1596:                             ;   in Loop: Header=BB2_1323 Depth=1
	global_load_dword v1, v[3:4], off offset:24
	s_waitcnt vmcnt(0)
	v_readfirstlane_b32 s20, v1
	s_and_b32 m0, s20, 0xffffff
	global_store_dwordx2 v[7:8], v[1:2], off
	s_sendmsg sendmsg(MSG_INTERRUPT)
.LBB2_1597:                             ;   in Loop: Header=BB2_1323 Depth=1
	s_or_b64 exec, exec, s[18:19]
	s_branch .LBB2_1601
.LBB2_1598:                             ;   in Loop: Header=BB2_1601 Depth=2
	s_or_b64 exec, exec, s[18:19]
	v_readfirstlane_b32 s18, v1
	s_cmp_eq_u32 s18, 0
	s_cbranch_scc1 .LBB2_1600
; %bb.1599:                             ;   in Loop: Header=BB2_1601 Depth=2
	s_sleep 1
	s_cbranch_execnz .LBB2_1601
	s_branch .LBB2_1603
.LBB2_1600:                             ;   in Loop: Header=BB2_1323 Depth=1
	s_branch .LBB2_1603
.LBB2_1601:                             ;   Parent Loop BB2_1323 Depth=1
                                        ; =>  This Inner Loop Header: Depth=2
	v_mov_b32_e32 v1, 1
	s_and_saveexec_b64 s[18:19], s[4:5]
	s_cbranch_execz .LBB2_1598
; %bb.1602:                             ;   in Loop: Header=BB2_1601 Depth=2
	global_load_dword v1, v[17:18], off offset:20 glc
	s_waitcnt vmcnt(0)
	buffer_wbinvl1_vol
	v_and_b32_e32 v1, 1, v1
	s_branch .LBB2_1598
.LBB2_1603:                             ;   in Loop: Header=BB2_1323 Depth=1
	s_and_saveexec_b64 s[18:19], s[4:5]
	s_cbranch_execz .LBB2_1322
; %bb.1604:                             ;   in Loop: Header=BB2_1323 Depth=1
	global_load_dwordx2 v[3:4], v2, s[34:35] offset:40
	global_load_dwordx2 v[11:12], v2, s[34:35] offset:24 glc
	global_load_dwordx2 v[7:8], v2, s[34:35]
	s_waitcnt vmcnt(2)
	v_readfirstlane_b32 s20, v3
	v_readfirstlane_b32 s21, v4
	s_add_u32 s22, s20, 1
	s_addc_u32 s23, s21, 0
	s_add_u32 s4, s22, s16
	s_addc_u32 s5, s23, s17
	s_cmp_eq_u64 s[4:5], 0
	s_cselect_b32 s5, s23, s5
	s_cselect_b32 s4, s22, s4
	s_and_b64 s[16:17], s[4:5], s[20:21]
	s_mul_i32 s17, s17, 24
	s_mul_hi_u32 s20, s16, 24
	s_mul_i32 s16, s16, 24
	s_add_i32 s17, s20, s17
	v_mov_b32_e32 v1, s17
	s_waitcnt vmcnt(0)
	v_add_co_u32_e32 v3, vcc, s16, v7
	v_addc_co_u32_e32 v4, vcc, v8, v1, vcc
	v_mov_b32_e32 v9, s4
	global_store_dwordx2 v[3:4], v[11:12], off
	v_mov_b32_e32 v10, s5
	s_waitcnt vmcnt(0)
	global_atomic_cmpswap_x2 v[9:10], v2, v[9:12], s[34:35] offset:24 glc
	s_waitcnt vmcnt(0)
	v_cmp_ne_u64_e32 vcc, v[9:10], v[11:12]
	s_and_b64 exec, exec, vcc
	s_cbranch_execz .LBB2_1322
; %bb.1605:                             ;   in Loop: Header=BB2_1323 Depth=1
	s_mov_b64 s[16:17], 0
.LBB2_1606:                             ;   Parent Loop BB2_1323 Depth=1
                                        ; =>  This Inner Loop Header: Depth=2
	s_sleep 1
	global_store_dwordx2 v[3:4], v[9:10], off
	v_mov_b32_e32 v7, s4
	v_mov_b32_e32 v8, s5
	s_waitcnt vmcnt(0)
	global_atomic_cmpswap_x2 v[7:8], v2, v[7:10], s[34:35] offset:24 glc
	s_waitcnt vmcnt(0)
	v_cmp_eq_u64_e32 vcc, v[7:8], v[9:10]
	v_mov_b32_e32 v10, v8
	s_or_b64 s[16:17], vcc, s[16:17]
	v_mov_b32_e32 v9, v7
	s_andn2_b64 exec, exec, s[16:17]
	s_cbranch_execnz .LBB2_1606
	s_branch .LBB2_1322
.LBB2_1607:
	v_readfirstlane_b32 s4, v38
	s_waitcnt vmcnt(0)
	v_mov_b32_e32 v5, 0
	v_mov_b32_e32 v6, 0
	v_cmp_eq_u32_e64 s[4:5], s4, v38
	s_and_saveexec_b64 s[6:7], s[4:5]
	s_cbranch_execz .LBB2_1613
; %bb.1608:
	v_mov_b32_e32 v0, 0
	global_load_dwordx2 v[3:4], v0, s[34:35] offset:24 glc
	s_waitcnt vmcnt(0)
	buffer_wbinvl1_vol
	global_load_dwordx2 v[1:2], v0, s[34:35] offset:40
	global_load_dwordx2 v[5:6], v0, s[34:35]
	s_waitcnt vmcnt(1)
	v_and_b32_e32 v1, v1, v3
	v_and_b32_e32 v2, v2, v4
	v_mul_lo_u32 v2, v2, 24
	v_mul_hi_u32 v7, v1, 24
	v_mul_lo_u32 v1, v1, 24
	v_add_u32_e32 v2, v7, v2
	s_waitcnt vmcnt(0)
	v_add_co_u32_e32 v1, vcc, v5, v1
	v_addc_co_u32_e32 v2, vcc, v6, v2, vcc
	global_load_dwordx2 v[1:2], v[1:2], off glc
	s_waitcnt vmcnt(0)
	global_atomic_cmpswap_x2 v[5:6], v0, v[1:4], s[34:35] offset:24 glc
	s_waitcnt vmcnt(0)
	buffer_wbinvl1_vol
	v_cmp_ne_u64_e32 vcc, v[5:6], v[3:4]
	s_and_saveexec_b64 s[8:9], vcc
	s_cbranch_execz .LBB2_1612
; %bb.1609:
	s_mov_b64 s[10:11], 0
.LBB2_1610:                             ; =>This Inner Loop Header: Depth=1
	s_sleep 1
	global_load_dwordx2 v[1:2], v0, s[34:35] offset:40
	global_load_dwordx2 v[7:8], v0, s[34:35]
	v_mov_b32_e32 v3, v5
	v_mov_b32_e32 v4, v6
	s_waitcnt vmcnt(1)
	v_and_b32_e32 v1, v1, v3
	s_waitcnt vmcnt(0)
	v_mad_u64_u32 v[5:6], s[12:13], v1, 24, v[7:8]
	v_and_b32_e32 v2, v2, v4
	v_mov_b32_e32 v1, v6
	v_mad_u64_u32 v[1:2], s[12:13], v2, 24, v[1:2]
	v_mov_b32_e32 v6, v1
	global_load_dwordx2 v[1:2], v[5:6], off glc
	s_waitcnt vmcnt(0)
	global_atomic_cmpswap_x2 v[5:6], v0, v[1:4], s[34:35] offset:24 glc
	s_waitcnt vmcnt(0)
	buffer_wbinvl1_vol
	v_cmp_eq_u64_e32 vcc, v[5:6], v[3:4]
	s_or_b64 s[10:11], vcc, s[10:11]
	s_andn2_b64 exec, exec, s[10:11]
	s_cbranch_execnz .LBB2_1610
; %bb.1611:
	s_or_b64 exec, exec, s[10:11]
.LBB2_1612:
	s_or_b64 exec, exec, s[8:9]
.LBB2_1613:
	s_or_b64 exec, exec, s[6:7]
	v_mov_b32_e32 v4, 0
	global_load_dwordx2 v[7:8], v4, s[34:35] offset:40
	global_load_dwordx4 v[0:3], v4, s[34:35]
	v_readfirstlane_b32 s7, v6
	v_readfirstlane_b32 s6, v5
	s_mov_b64 s[8:9], exec
	s_waitcnt vmcnt(1)
	v_readfirstlane_b32 s10, v7
	v_readfirstlane_b32 s11, v8
	s_and_b64 s[10:11], s[10:11], s[6:7]
	s_mul_i32 s12, s11, 24
	s_mul_hi_u32 s13, s10, 24
	s_mul_i32 s14, s10, 24
	s_add_i32 s12, s13, s12
	v_mov_b32_e32 v5, s12
	s_waitcnt vmcnt(0)
	v_add_co_u32_e32 v7, vcc, s14, v0
	v_addc_co_u32_e32 v8, vcc, v1, v5, vcc
	s_and_saveexec_b64 s[12:13], s[4:5]
	s_cbranch_execz .LBB2_1615
; %bb.1614:
	v_mov_b32_e32 v10, s9
	v_mov_b32_e32 v9, s8
	;; [unrolled: 1-line block ×4, first 2 shown]
	global_store_dwordx4 v[7:8], v[9:12], off offset:8
.LBB2_1615:
	s_or_b64 exec, exec, s[12:13]
	s_lshl_b64 s[8:9], s[10:11], 12
	v_mov_b32_e32 v5, s9
	v_add_co_u32_e32 v2, vcc, s8, v2
	v_addc_co_u32_e32 v11, vcc, v3, v5, vcc
	s_mov_b32 s8, 0
	v_mov_b32_e32 v3, 33
	v_mov_b32_e32 v5, v4
	;; [unrolled: 1-line block ×3, first 2 shown]
	v_readfirstlane_b32 s12, v2
	v_readfirstlane_b32 s13, v11
	v_add_co_u32_e32 v9, vcc, v2, v37
	s_mov_b32 s9, s8
	s_mov_b32 s10, s8
	;; [unrolled: 1-line block ×3, first 2 shown]
	s_nop 0
	global_store_dwordx4 v37, v[3:6], s[12:13]
	v_mov_b32_e32 v2, s8
	v_addc_co_u32_e32 v10, vcc, 0, v11, vcc
	v_mov_b32_e32 v3, s9
	v_mov_b32_e32 v4, s10
	;; [unrolled: 1-line block ×3, first 2 shown]
	global_store_dwordx4 v37, v[2:5], s[12:13] offset:16
	global_store_dwordx4 v37, v[2:5], s[12:13] offset:32
	;; [unrolled: 1-line block ×3, first 2 shown]
	s_and_saveexec_b64 s[8:9], s[4:5]
	s_cbranch_execz .LBB2_1623
; %bb.1616:
	v_mov_b32_e32 v6, 0
	global_load_dwordx2 v[13:14], v6, s[34:35] offset:32 glc
	global_load_dwordx2 v[2:3], v6, s[34:35] offset:40
	v_mov_b32_e32 v11, s6
	v_mov_b32_e32 v12, s7
	s_waitcnt vmcnt(0)
	v_readfirstlane_b32 s10, v2
	v_readfirstlane_b32 s11, v3
	s_and_b64 s[10:11], s[10:11], s[6:7]
	s_mul_i32 s11, s11, 24
	s_mul_hi_u32 s12, s10, 24
	s_mul_i32 s10, s10, 24
	s_add_i32 s11, s12, s11
	v_mov_b32_e32 v2, s11
	v_add_co_u32_e32 v4, vcc, s10, v0
	v_addc_co_u32_e32 v5, vcc, v1, v2, vcc
	global_store_dwordx2 v[4:5], v[13:14], off
	s_waitcnt vmcnt(0)
	global_atomic_cmpswap_x2 v[2:3], v6, v[11:14], s[34:35] offset:32 glc
	s_waitcnt vmcnt(0)
	v_cmp_ne_u64_e32 vcc, v[2:3], v[13:14]
	s_and_saveexec_b64 s[10:11], vcc
	s_cbranch_execz .LBB2_1619
; %bb.1617:
	s_mov_b64 s[12:13], 0
.LBB2_1618:                             ; =>This Inner Loop Header: Depth=1
	s_sleep 1
	global_store_dwordx2 v[4:5], v[2:3], off
	v_mov_b32_e32 v0, s6
	v_mov_b32_e32 v1, s7
	s_waitcnt vmcnt(0)
	global_atomic_cmpswap_x2 v[0:1], v6, v[0:3], s[34:35] offset:32 glc
	s_waitcnt vmcnt(0)
	v_cmp_eq_u64_e32 vcc, v[0:1], v[2:3]
	v_mov_b32_e32 v3, v1
	s_or_b64 s[12:13], vcc, s[12:13]
	v_mov_b32_e32 v2, v0
	s_andn2_b64 exec, exec, s[12:13]
	s_cbranch_execnz .LBB2_1618
.LBB2_1619:
	s_or_b64 exec, exec, s[10:11]
	v_mov_b32_e32 v3, 0
	global_load_dwordx2 v[0:1], v3, s[34:35] offset:16
	s_mov_b64 s[10:11], exec
	v_mbcnt_lo_u32_b32 v2, s10, 0
	v_mbcnt_hi_u32_b32 v2, s11, v2
	v_cmp_eq_u32_e32 vcc, 0, v2
	s_and_saveexec_b64 s[12:13], vcc
	s_cbranch_execz .LBB2_1621
; %bb.1620:
	s_bcnt1_i32_b64 s10, s[10:11]
	v_mov_b32_e32 v2, s10
	s_waitcnt vmcnt(0)
	global_atomic_add_x2 v[0:1], v[2:3], off offset:8
.LBB2_1621:
	s_or_b64 exec, exec, s[12:13]
	s_waitcnt vmcnt(0)
	global_load_dwordx2 v[2:3], v[0:1], off offset:16
	s_waitcnt vmcnt(0)
	v_cmp_eq_u64_e32 vcc, 0, v[2:3]
	s_cbranch_vccnz .LBB2_1623
; %bb.1622:
	global_load_dword v0, v[0:1], off offset:24
	v_mov_b32_e32 v1, 0
	s_waitcnt vmcnt(0)
	v_readfirstlane_b32 s10, v0
	s_and_b32 m0, s10, 0xffffff
	global_store_dwordx2 v[2:3], v[0:1], off
	s_sendmsg sendmsg(MSG_INTERRUPT)
.LBB2_1623:
	s_or_b64 exec, exec, s[8:9]
	s_branch .LBB2_1627
.LBB2_1624:                             ;   in Loop: Header=BB2_1627 Depth=1
	s_or_b64 exec, exec, s[8:9]
	v_readfirstlane_b32 s8, v0
	s_cmp_eq_u32 s8, 0
	s_cbranch_scc1 .LBB2_1626
; %bb.1625:                             ;   in Loop: Header=BB2_1627 Depth=1
	s_sleep 1
	s_cbranch_execnz .LBB2_1627
	s_branch .LBB2_1629
.LBB2_1626:
	s_branch .LBB2_1629
.LBB2_1627:                             ; =>This Inner Loop Header: Depth=1
	v_mov_b32_e32 v0, 1
	s_and_saveexec_b64 s[8:9], s[4:5]
	s_cbranch_execz .LBB2_1624
; %bb.1628:                             ;   in Loop: Header=BB2_1627 Depth=1
	global_load_dword v0, v[7:8], off offset:20 glc
	s_waitcnt vmcnt(0)
	buffer_wbinvl1_vol
	v_and_b32_e32 v0, 1, v0
	s_branch .LBB2_1624
.LBB2_1629:
	global_load_dwordx2 v[0:1], v[9:10], off
	s_and_saveexec_b64 s[8:9], s[4:5]
	s_cbranch_execz .LBB2_1632
; %bb.1630:
	v_mov_b32_e32 v8, 0
	global_load_dwordx2 v[2:3], v8, s[34:35] offset:40
	global_load_dwordx2 v[11:12], v8, s[34:35] offset:24 glc
	global_load_dwordx2 v[4:5], v8, s[34:35]
	s_waitcnt vmcnt(2)
	v_readfirstlane_b32 s10, v2
	v_readfirstlane_b32 s11, v3
	s_add_u32 s12, s10, 1
	s_addc_u32 s13, s11, 0
	s_add_u32 s4, s12, s6
	s_addc_u32 s5, s13, s7
	s_cmp_eq_u64 s[4:5], 0
	s_cselect_b32 s5, s13, s5
	s_cselect_b32 s4, s12, s4
	s_and_b64 s[6:7], s[4:5], s[10:11]
	s_mul_i32 s7, s7, 24
	s_mul_hi_u32 s10, s6, 24
	s_mul_i32 s6, s6, 24
	s_add_i32 s7, s10, s7
	v_mov_b32_e32 v2, s7
	s_waitcnt vmcnt(0)
	v_add_co_u32_e32 v6, vcc, s6, v4
	v_addc_co_u32_e32 v7, vcc, v5, v2, vcc
	v_mov_b32_e32 v9, s4
	global_store_dwordx2 v[6:7], v[11:12], off
	v_mov_b32_e32 v10, s5
	s_waitcnt vmcnt(0)
	global_atomic_cmpswap_x2 v[4:5], v8, v[9:12], s[34:35] offset:24 glc
	s_mov_b64 s[6:7], 0
	s_waitcnt vmcnt(0)
	v_cmp_ne_u64_e32 vcc, v[4:5], v[11:12]
	s_and_b64 exec, exec, vcc
	s_cbranch_execz .LBB2_1632
.LBB2_1631:                             ; =>This Inner Loop Header: Depth=1
	s_sleep 1
	global_store_dwordx2 v[6:7], v[4:5], off
	v_mov_b32_e32 v2, s4
	v_mov_b32_e32 v3, s5
	s_waitcnt vmcnt(0)
	global_atomic_cmpswap_x2 v[2:3], v8, v[2:5], s[34:35] offset:24 glc
	s_waitcnt vmcnt(0)
	v_cmp_eq_u64_e32 vcc, v[2:3], v[4:5]
	v_mov_b32_e32 v5, v3
	s_or_b64 s[6:7], vcc, s[6:7]
	v_mov_b32_e32 v4, v2
	s_andn2_b64 exec, exec, s[6:7]
	s_cbranch_execnz .LBB2_1631
.LBB2_1632:
	s_or_b64 exec, exec, s[8:9]
	s_getpc_b64 s[4:5]
	s_add_u32 s4, s4, .str.9@rel32@lo+4
	s_addc_u32 s5, s5, .str.9@rel32@hi+12
	s_cmp_lg_u64 s[4:5], 0
	s_cselect_b32 s10, 13, 0
	s_add_u32 s8, s26, 40
	s_addc_u32 s9, s27, 0
	s_getpc_b64 s[6:7]
	s_add_u32 s6, s6, __ockl_printf_append_string_n@rel32@lo+4
	s_addc_u32 s7, s7, __ockl_printf_append_string_n@rel32@hi+12
	v_mov_b32_e32 v2, s4
	v_mov_b32_e32 v3, s5
	;; [unrolled: 1-line block ×5, first 2 shown]
	s_swappc_b64 s[30:31], s[6:7]
	v_readfirstlane_b32 s4, v38
	v_mov_b32_e32 v8, 0
	v_mov_b32_e32 v9, 0
	v_cmp_eq_u32_e64 s[4:5], s4, v38
	s_and_saveexec_b64 s[6:7], s[4:5]
	s_cbranch_execz .LBB2_1638
; %bb.1633:
	v_mov_b32_e32 v2, 0
	global_load_dwordx2 v[5:6], v2, s[34:35] offset:24 glc
	s_waitcnt vmcnt(0)
	buffer_wbinvl1_vol
	global_load_dwordx2 v[3:4], v2, s[34:35] offset:40
	global_load_dwordx2 v[7:8], v2, s[34:35]
	s_waitcnt vmcnt(1)
	v_and_b32_e32 v3, v3, v5
	v_and_b32_e32 v4, v4, v6
	v_mul_lo_u32 v4, v4, 24
	v_mul_hi_u32 v9, v3, 24
	v_mul_lo_u32 v3, v3, 24
	v_add_u32_e32 v4, v9, v4
	s_waitcnt vmcnt(0)
	v_add_co_u32_e32 v3, vcc, v7, v3
	v_addc_co_u32_e32 v4, vcc, v8, v4, vcc
	global_load_dwordx2 v[3:4], v[3:4], off glc
	s_waitcnt vmcnt(0)
	global_atomic_cmpswap_x2 v[8:9], v2, v[3:6], s[34:35] offset:24 glc
	s_waitcnt vmcnt(0)
	buffer_wbinvl1_vol
	v_cmp_ne_u64_e32 vcc, v[8:9], v[5:6]
	s_and_saveexec_b64 s[8:9], vcc
	s_cbranch_execz .LBB2_1637
; %bb.1634:
	s_mov_b64 s[10:11], 0
.LBB2_1635:                             ; =>This Inner Loop Header: Depth=1
	s_sleep 1
	global_load_dwordx2 v[3:4], v2, s[34:35] offset:40
	global_load_dwordx2 v[10:11], v2, s[34:35]
	v_mov_b32_e32 v5, v8
	v_mov_b32_e32 v6, v9
	s_waitcnt vmcnt(1)
	v_and_b32_e32 v3, v3, v5
	s_waitcnt vmcnt(0)
	v_mad_u64_u32 v[7:8], s[12:13], v3, 24, v[10:11]
	v_and_b32_e32 v4, v4, v6
	v_mov_b32_e32 v3, v8
	v_mad_u64_u32 v[3:4], s[12:13], v4, 24, v[3:4]
	v_mov_b32_e32 v8, v3
	global_load_dwordx2 v[3:4], v[7:8], off glc
	s_waitcnt vmcnt(0)
	global_atomic_cmpswap_x2 v[8:9], v2, v[3:6], s[34:35] offset:24 glc
	s_waitcnt vmcnt(0)
	buffer_wbinvl1_vol
	v_cmp_eq_u64_e32 vcc, v[8:9], v[5:6]
	s_or_b64 s[10:11], vcc, s[10:11]
	s_andn2_b64 exec, exec, s[10:11]
	s_cbranch_execnz .LBB2_1635
; %bb.1636:
	s_or_b64 exec, exec, s[10:11]
.LBB2_1637:
	s_or_b64 exec, exec, s[8:9]
.LBB2_1638:
	s_or_b64 exec, exec, s[6:7]
	v_mov_b32_e32 v3, 0
	global_load_dwordx2 v[10:11], v3, s[34:35] offset:40
	global_load_dwordx4 v[4:7], v3, s[34:35]
	v_readfirstlane_b32 s7, v9
	v_readfirstlane_b32 s6, v8
	s_mov_b64 s[8:9], exec
	s_waitcnt vmcnt(1)
	v_readfirstlane_b32 s10, v10
	v_readfirstlane_b32 s11, v11
	s_and_b64 s[10:11], s[10:11], s[6:7]
	s_mul_i32 s12, s11, 24
	s_mul_hi_u32 s13, s10, 24
	s_mul_i32 s14, s10, 24
	s_add_i32 s12, s13, s12
	v_mov_b32_e32 v2, s12
	s_waitcnt vmcnt(0)
	v_add_co_u32_e32 v8, vcc, s14, v4
	v_addc_co_u32_e32 v9, vcc, v5, v2, vcc
	s_and_saveexec_b64 s[12:13], s[4:5]
	s_cbranch_execz .LBB2_1640
; %bb.1639:
	v_mov_b32_e32 v11, s9
	v_mov_b32_e32 v10, s8
	;; [unrolled: 1-line block ×4, first 2 shown]
	global_store_dwordx4 v[8:9], v[10:13], off offset:8
.LBB2_1640:
	s_or_b64 exec, exec, s[12:13]
	s_lshl_b64 s[8:9], s[10:11], 12
	v_mov_b32_e32 v2, s9
	v_add_co_u32_e32 v6, vcc, s8, v6
	v_addc_co_u32_e32 v7, vcc, v7, v2, vcc
	s_movk_i32 s9, 0xff1d
	s_mov_b32 s8, 0
	v_and_or_b32 v0, v0, s9, 34
	v_mov_b32_e32 v2, s28
	v_readfirstlane_b32 s12, v6
	v_readfirstlane_b32 s13, v7
	s_mov_b32 s9, s8
	s_mov_b32 s10, s8
	;; [unrolled: 1-line block ×3, first 2 shown]
	s_nop 1
	global_store_dwordx4 v37, v[0:3], s[12:13]
	s_nop 0
	v_mov_b32_e32 v0, s8
	v_mov_b32_e32 v1, s9
	;; [unrolled: 1-line block ×4, first 2 shown]
	global_store_dwordx4 v37, v[0:3], s[12:13] offset:16
	global_store_dwordx4 v37, v[0:3], s[12:13] offset:32
	;; [unrolled: 1-line block ×3, first 2 shown]
	s_and_saveexec_b64 s[8:9], s[4:5]
	s_cbranch_execz .LBB2_1648
; %bb.1641:
	v_mov_b32_e32 v6, 0
	global_load_dwordx2 v[12:13], v6, s[34:35] offset:32 glc
	global_load_dwordx2 v[0:1], v6, s[34:35] offset:40
	v_mov_b32_e32 v10, s6
	v_mov_b32_e32 v11, s7
	s_waitcnt vmcnt(0)
	v_readfirstlane_b32 s10, v0
	v_readfirstlane_b32 s11, v1
	s_and_b64 s[10:11], s[10:11], s[6:7]
	s_mul_i32 s11, s11, 24
	s_mul_hi_u32 s12, s10, 24
	s_mul_i32 s10, s10, 24
	s_add_i32 s11, s12, s11
	v_mov_b32_e32 v0, s11
	v_add_co_u32_e32 v4, vcc, s10, v4
	v_addc_co_u32_e32 v5, vcc, v5, v0, vcc
	global_store_dwordx2 v[4:5], v[12:13], off
	s_waitcnt vmcnt(0)
	global_atomic_cmpswap_x2 v[2:3], v6, v[10:13], s[34:35] offset:32 glc
	s_waitcnt vmcnt(0)
	v_cmp_ne_u64_e32 vcc, v[2:3], v[12:13]
	s_and_saveexec_b64 s[10:11], vcc
	s_cbranch_execz .LBB2_1644
; %bb.1642:
	s_mov_b64 s[12:13], 0
.LBB2_1643:                             ; =>This Inner Loop Header: Depth=1
	s_sleep 1
	global_store_dwordx2 v[4:5], v[2:3], off
	v_mov_b32_e32 v0, s6
	v_mov_b32_e32 v1, s7
	s_waitcnt vmcnt(0)
	global_atomic_cmpswap_x2 v[0:1], v6, v[0:3], s[34:35] offset:32 glc
	s_waitcnt vmcnt(0)
	v_cmp_eq_u64_e32 vcc, v[0:1], v[2:3]
	v_mov_b32_e32 v3, v1
	s_or_b64 s[12:13], vcc, s[12:13]
	v_mov_b32_e32 v2, v0
	s_andn2_b64 exec, exec, s[12:13]
	s_cbranch_execnz .LBB2_1643
.LBB2_1644:
	s_or_b64 exec, exec, s[10:11]
	v_mov_b32_e32 v3, 0
	global_load_dwordx2 v[0:1], v3, s[34:35] offset:16
	s_mov_b64 s[10:11], exec
	v_mbcnt_lo_u32_b32 v2, s10, 0
	v_mbcnt_hi_u32_b32 v2, s11, v2
	v_cmp_eq_u32_e32 vcc, 0, v2
	s_and_saveexec_b64 s[12:13], vcc
	s_cbranch_execz .LBB2_1646
; %bb.1645:
	s_bcnt1_i32_b64 s10, s[10:11]
	v_mov_b32_e32 v2, s10
	s_waitcnt vmcnt(0)
	global_atomic_add_x2 v[0:1], v[2:3], off offset:8
.LBB2_1646:
	s_or_b64 exec, exec, s[12:13]
	s_waitcnt vmcnt(0)
	global_load_dwordx2 v[2:3], v[0:1], off offset:16
	s_waitcnt vmcnt(0)
	v_cmp_eq_u64_e32 vcc, 0, v[2:3]
	s_cbranch_vccnz .LBB2_1648
; %bb.1647:
	global_load_dword v0, v[0:1], off offset:24
	v_mov_b32_e32 v1, 0
	s_waitcnt vmcnt(0)
	v_readfirstlane_b32 s10, v0
	s_and_b32 m0, s10, 0xffffff
	global_store_dwordx2 v[2:3], v[0:1], off
	s_sendmsg sendmsg(MSG_INTERRUPT)
.LBB2_1648:
	s_or_b64 exec, exec, s[8:9]
	s_branch .LBB2_1652
.LBB2_1649:                             ;   in Loop: Header=BB2_1652 Depth=1
	s_or_b64 exec, exec, s[8:9]
	v_readfirstlane_b32 s8, v0
	s_cmp_eq_u32 s8, 0
	s_cbranch_scc1 .LBB2_1651
; %bb.1650:                             ;   in Loop: Header=BB2_1652 Depth=1
	s_sleep 1
	s_cbranch_execnz .LBB2_1652
	s_branch .LBB2_1654
.LBB2_1651:
	s_branch .LBB2_1654
.LBB2_1652:                             ; =>This Inner Loop Header: Depth=1
	v_mov_b32_e32 v0, 1
	s_and_saveexec_b64 s[8:9], s[4:5]
	s_cbranch_execz .LBB2_1649
; %bb.1653:                             ;   in Loop: Header=BB2_1652 Depth=1
	global_load_dword v0, v[8:9], off offset:20 glc
	s_waitcnt vmcnt(0)
	buffer_wbinvl1_vol
	v_and_b32_e32 v0, 1, v0
	s_branch .LBB2_1649
.LBB2_1654:
	s_and_saveexec_b64 s[8:9], s[4:5]
	s_cbranch_execz .LBB2_1657
; %bb.1655:
	v_mov_b32_e32 v6, 0
	global_load_dwordx2 v[0:1], v6, s[34:35] offset:40
	global_load_dwordx2 v[9:10], v6, s[34:35] offset:24 glc
	global_load_dwordx2 v[2:3], v6, s[34:35]
	s_waitcnt vmcnt(2)
	v_readfirstlane_b32 s10, v0
	v_readfirstlane_b32 s11, v1
	s_add_u32 s12, s10, 1
	s_addc_u32 s13, s11, 0
	s_add_u32 s4, s12, s6
	s_addc_u32 s5, s13, s7
	s_cmp_eq_u64 s[4:5], 0
	s_cselect_b32 s5, s13, s5
	s_cselect_b32 s4, s12, s4
	s_and_b64 s[6:7], s[4:5], s[10:11]
	s_mul_i32 s7, s7, 24
	s_mul_hi_u32 s10, s6, 24
	s_mul_i32 s6, s6, 24
	s_add_i32 s7, s10, s7
	v_mov_b32_e32 v0, s7
	s_waitcnt vmcnt(0)
	v_add_co_u32_e32 v4, vcc, s6, v2
	v_addc_co_u32_e32 v5, vcc, v3, v0, vcc
	v_mov_b32_e32 v7, s4
	global_store_dwordx2 v[4:5], v[9:10], off
	v_mov_b32_e32 v8, s5
	s_waitcnt vmcnt(0)
	global_atomic_cmpswap_x2 v[2:3], v6, v[7:10], s[34:35] offset:24 glc
	s_mov_b64 s[6:7], 0
	s_waitcnt vmcnt(0)
	v_cmp_ne_u64_e32 vcc, v[2:3], v[9:10]
	s_and_b64 exec, exec, vcc
	s_cbranch_execz .LBB2_1657
.LBB2_1656:                             ; =>This Inner Loop Header: Depth=1
	s_sleep 1
	global_store_dwordx2 v[4:5], v[2:3], off
	v_mov_b32_e32 v0, s4
	v_mov_b32_e32 v1, s5
	s_waitcnt vmcnt(0)
	global_atomic_cmpswap_x2 v[0:1], v6, v[0:3], s[34:35] offset:24 glc
	s_waitcnt vmcnt(0)
	v_cmp_eq_u64_e32 vcc, v[0:1], v[2:3]
	v_mov_b32_e32 v3, v1
	s_or_b64 s[6:7], vcc, s[6:7]
	v_mov_b32_e32 v2, v0
	s_andn2_b64 exec, exec, s[6:7]
	s_cbranch_execnz .LBB2_1656
.LBB2_1657:
	s_or_b64 exec, exec, s[8:9]
	v_readfirstlane_b32 s4, v38
	v_mov_b32_e32 v5, 0
	v_mov_b32_e32 v6, 0
	v_cmp_eq_u32_e64 s[4:5], s4, v38
	s_and_saveexec_b64 s[6:7], s[4:5]
	s_cbranch_execz .LBB2_1663
; %bb.1658:
	v_mov_b32_e32 v0, 0
	global_load_dwordx2 v[3:4], v0, s[34:35] offset:24 glc
	s_waitcnt vmcnt(0)
	buffer_wbinvl1_vol
	global_load_dwordx2 v[1:2], v0, s[34:35] offset:40
	global_load_dwordx2 v[5:6], v0, s[34:35]
	s_waitcnt vmcnt(1)
	v_and_b32_e32 v1, v1, v3
	v_and_b32_e32 v2, v2, v4
	v_mul_lo_u32 v2, v2, 24
	v_mul_hi_u32 v7, v1, 24
	v_mul_lo_u32 v1, v1, 24
	v_add_u32_e32 v2, v7, v2
	s_waitcnt vmcnt(0)
	v_add_co_u32_e32 v1, vcc, v5, v1
	v_addc_co_u32_e32 v2, vcc, v6, v2, vcc
	global_load_dwordx2 v[1:2], v[1:2], off glc
	s_waitcnt vmcnt(0)
	global_atomic_cmpswap_x2 v[5:6], v0, v[1:4], s[34:35] offset:24 glc
	s_waitcnt vmcnt(0)
	buffer_wbinvl1_vol
	v_cmp_ne_u64_e32 vcc, v[5:6], v[3:4]
	s_and_saveexec_b64 s[8:9], vcc
	s_cbranch_execz .LBB2_1662
; %bb.1659:
	s_mov_b64 s[10:11], 0
.LBB2_1660:                             ; =>This Inner Loop Header: Depth=1
	s_sleep 1
	global_load_dwordx2 v[1:2], v0, s[34:35] offset:40
	global_load_dwordx2 v[7:8], v0, s[34:35]
	v_mov_b32_e32 v3, v5
	v_mov_b32_e32 v4, v6
	s_waitcnt vmcnt(1)
	v_and_b32_e32 v1, v1, v3
	s_waitcnt vmcnt(0)
	v_mad_u64_u32 v[5:6], s[12:13], v1, 24, v[7:8]
	v_and_b32_e32 v2, v2, v4
	v_mov_b32_e32 v1, v6
	v_mad_u64_u32 v[1:2], s[12:13], v2, 24, v[1:2]
	v_mov_b32_e32 v6, v1
	global_load_dwordx2 v[1:2], v[5:6], off glc
	s_waitcnt vmcnt(0)
	global_atomic_cmpswap_x2 v[5:6], v0, v[1:4], s[34:35] offset:24 glc
	s_waitcnt vmcnt(0)
	buffer_wbinvl1_vol
	v_cmp_eq_u64_e32 vcc, v[5:6], v[3:4]
	s_or_b64 s[10:11], vcc, s[10:11]
	s_andn2_b64 exec, exec, s[10:11]
	s_cbranch_execnz .LBB2_1660
; %bb.1661:
	s_or_b64 exec, exec, s[10:11]
.LBB2_1662:
	s_or_b64 exec, exec, s[8:9]
.LBB2_1663:
	s_or_b64 exec, exec, s[6:7]
	v_mov_b32_e32 v4, 0
	global_load_dwordx2 v[7:8], v4, s[34:35] offset:40
	global_load_dwordx4 v[0:3], v4, s[34:35]
	v_readfirstlane_b32 s7, v6
	v_readfirstlane_b32 s6, v5
	s_mov_b64 s[8:9], exec
	s_waitcnt vmcnt(1)
	v_readfirstlane_b32 s10, v7
	v_readfirstlane_b32 s11, v8
	s_and_b64 s[10:11], s[10:11], s[6:7]
	s_mul_i32 s12, s11, 24
	s_mul_hi_u32 s13, s10, 24
	s_mul_i32 s14, s10, 24
	s_add_i32 s12, s13, s12
	v_mov_b32_e32 v5, s12
	s_waitcnt vmcnt(0)
	v_add_co_u32_e32 v7, vcc, s14, v0
	v_addc_co_u32_e32 v8, vcc, v1, v5, vcc
	s_and_saveexec_b64 s[12:13], s[4:5]
	s_cbranch_execz .LBB2_1665
; %bb.1664:
	v_mov_b32_e32 v10, s9
	v_mov_b32_e32 v9, s8
	;; [unrolled: 1-line block ×4, first 2 shown]
	global_store_dwordx4 v[7:8], v[9:12], off offset:8
.LBB2_1665:
	s_or_b64 exec, exec, s[12:13]
	s_lshl_b64 s[8:9], s[10:11], 12
	v_mov_b32_e32 v5, s9
	v_add_co_u32_e32 v2, vcc, s8, v2
	v_addc_co_u32_e32 v11, vcc, v3, v5, vcc
	s_mov_b32 s8, 0
	v_mov_b32_e32 v3, 33
	v_mov_b32_e32 v5, v4
	;; [unrolled: 1-line block ×3, first 2 shown]
	v_readfirstlane_b32 s12, v2
	v_readfirstlane_b32 s13, v11
	v_add_co_u32_e32 v9, vcc, v2, v37
	s_mov_b32 s9, s8
	s_mov_b32 s10, s8
	;; [unrolled: 1-line block ×3, first 2 shown]
	s_nop 0
	global_store_dwordx4 v37, v[3:6], s[12:13]
	v_mov_b32_e32 v2, s8
	v_addc_co_u32_e32 v10, vcc, 0, v11, vcc
	v_mov_b32_e32 v3, s9
	v_mov_b32_e32 v4, s10
	;; [unrolled: 1-line block ×3, first 2 shown]
	global_store_dwordx4 v37, v[2:5], s[12:13] offset:16
	global_store_dwordx4 v37, v[2:5], s[12:13] offset:32
	;; [unrolled: 1-line block ×3, first 2 shown]
	s_and_saveexec_b64 s[8:9], s[4:5]
	s_cbranch_execz .LBB2_1673
; %bb.1666:
	v_mov_b32_e32 v6, 0
	global_load_dwordx2 v[13:14], v6, s[34:35] offset:32 glc
	global_load_dwordx2 v[2:3], v6, s[34:35] offset:40
	v_mov_b32_e32 v11, s6
	v_mov_b32_e32 v12, s7
	s_waitcnt vmcnt(0)
	v_readfirstlane_b32 s10, v2
	v_readfirstlane_b32 s11, v3
	s_and_b64 s[10:11], s[10:11], s[6:7]
	s_mul_i32 s11, s11, 24
	s_mul_hi_u32 s12, s10, 24
	s_mul_i32 s10, s10, 24
	s_add_i32 s11, s12, s11
	v_mov_b32_e32 v2, s11
	v_add_co_u32_e32 v4, vcc, s10, v0
	v_addc_co_u32_e32 v5, vcc, v1, v2, vcc
	global_store_dwordx2 v[4:5], v[13:14], off
	s_waitcnt vmcnt(0)
	global_atomic_cmpswap_x2 v[2:3], v6, v[11:14], s[34:35] offset:32 glc
	s_waitcnt vmcnt(0)
	v_cmp_ne_u64_e32 vcc, v[2:3], v[13:14]
	s_and_saveexec_b64 s[10:11], vcc
	s_cbranch_execz .LBB2_1669
; %bb.1667:
	s_mov_b64 s[12:13], 0
.LBB2_1668:                             ; =>This Inner Loop Header: Depth=1
	s_sleep 1
	global_store_dwordx2 v[4:5], v[2:3], off
	v_mov_b32_e32 v0, s6
	v_mov_b32_e32 v1, s7
	s_waitcnt vmcnt(0)
	global_atomic_cmpswap_x2 v[0:1], v6, v[0:3], s[34:35] offset:32 glc
	s_waitcnt vmcnt(0)
	v_cmp_eq_u64_e32 vcc, v[0:1], v[2:3]
	v_mov_b32_e32 v3, v1
	s_or_b64 s[12:13], vcc, s[12:13]
	v_mov_b32_e32 v2, v0
	s_andn2_b64 exec, exec, s[12:13]
	s_cbranch_execnz .LBB2_1668
.LBB2_1669:
	s_or_b64 exec, exec, s[10:11]
	v_mov_b32_e32 v3, 0
	global_load_dwordx2 v[0:1], v3, s[34:35] offset:16
	s_mov_b64 s[10:11], exec
	v_mbcnt_lo_u32_b32 v2, s10, 0
	v_mbcnt_hi_u32_b32 v2, s11, v2
	v_cmp_eq_u32_e32 vcc, 0, v2
	s_and_saveexec_b64 s[12:13], vcc
	s_cbranch_execz .LBB2_1671
; %bb.1670:
	s_bcnt1_i32_b64 s10, s[10:11]
	v_mov_b32_e32 v2, s10
	s_waitcnt vmcnt(0)
	global_atomic_add_x2 v[0:1], v[2:3], off offset:8
.LBB2_1671:
	s_or_b64 exec, exec, s[12:13]
	s_waitcnt vmcnt(0)
	global_load_dwordx2 v[2:3], v[0:1], off offset:16
	s_waitcnt vmcnt(0)
	v_cmp_eq_u64_e32 vcc, 0, v[2:3]
	s_cbranch_vccnz .LBB2_1673
; %bb.1672:
	global_load_dword v0, v[0:1], off offset:24
	v_mov_b32_e32 v1, 0
	s_waitcnt vmcnt(0)
	v_readfirstlane_b32 s10, v0
	s_and_b32 m0, s10, 0xffffff
	global_store_dwordx2 v[2:3], v[0:1], off
	s_sendmsg sendmsg(MSG_INTERRUPT)
.LBB2_1673:
	s_or_b64 exec, exec, s[8:9]
	s_branch .LBB2_1677
.LBB2_1674:                             ;   in Loop: Header=BB2_1677 Depth=1
	s_or_b64 exec, exec, s[8:9]
	v_readfirstlane_b32 s8, v0
	s_cmp_eq_u32 s8, 0
	s_cbranch_scc1 .LBB2_1676
; %bb.1675:                             ;   in Loop: Header=BB2_1677 Depth=1
	s_sleep 1
	s_cbranch_execnz .LBB2_1677
	s_branch .LBB2_1679
.LBB2_1676:
	s_branch .LBB2_1679
.LBB2_1677:                             ; =>This Inner Loop Header: Depth=1
	v_mov_b32_e32 v0, 1
	s_and_saveexec_b64 s[8:9], s[4:5]
	s_cbranch_execz .LBB2_1674
; %bb.1678:                             ;   in Loop: Header=BB2_1677 Depth=1
	global_load_dword v0, v[7:8], off offset:20 glc
	s_waitcnt vmcnt(0)
	buffer_wbinvl1_vol
	v_and_b32_e32 v0, 1, v0
	s_branch .LBB2_1674
.LBB2_1679:
	global_load_dwordx2 v[0:1], v[9:10], off
	s_and_saveexec_b64 s[8:9], s[4:5]
	s_cbranch_execz .LBB2_1682
; %bb.1680:
	v_mov_b32_e32 v8, 0
	global_load_dwordx2 v[2:3], v8, s[34:35] offset:40
	global_load_dwordx2 v[11:12], v8, s[34:35] offset:24 glc
	global_load_dwordx2 v[4:5], v8, s[34:35]
	s_waitcnt vmcnt(2)
	v_readfirstlane_b32 s10, v2
	v_readfirstlane_b32 s11, v3
	s_add_u32 s12, s10, 1
	s_addc_u32 s13, s11, 0
	s_add_u32 s4, s12, s6
	s_addc_u32 s5, s13, s7
	s_cmp_eq_u64 s[4:5], 0
	s_cselect_b32 s5, s13, s5
	s_cselect_b32 s4, s12, s4
	s_and_b64 s[6:7], s[4:5], s[10:11]
	s_mul_i32 s7, s7, 24
	s_mul_hi_u32 s10, s6, 24
	s_mul_i32 s6, s6, 24
	s_add_i32 s7, s10, s7
	v_mov_b32_e32 v2, s7
	s_waitcnt vmcnt(0)
	v_add_co_u32_e32 v6, vcc, s6, v4
	v_addc_co_u32_e32 v7, vcc, v5, v2, vcc
	v_mov_b32_e32 v9, s4
	global_store_dwordx2 v[6:7], v[11:12], off
	v_mov_b32_e32 v10, s5
	s_waitcnt vmcnt(0)
	global_atomic_cmpswap_x2 v[4:5], v8, v[9:12], s[34:35] offset:24 glc
	s_mov_b64 s[6:7], 0
	s_waitcnt vmcnt(0)
	v_cmp_ne_u64_e32 vcc, v[4:5], v[11:12]
	s_and_b64 exec, exec, vcc
	s_cbranch_execz .LBB2_1682
.LBB2_1681:                             ; =>This Inner Loop Header: Depth=1
	s_sleep 1
	global_store_dwordx2 v[6:7], v[4:5], off
	v_mov_b32_e32 v2, s4
	v_mov_b32_e32 v3, s5
	s_waitcnt vmcnt(0)
	global_atomic_cmpswap_x2 v[2:3], v8, v[2:5], s[34:35] offset:24 glc
	s_waitcnt vmcnt(0)
	v_cmp_eq_u64_e32 vcc, v[2:3], v[4:5]
	v_mov_b32_e32 v5, v3
	s_or_b64 s[6:7], vcc, s[6:7]
	v_mov_b32_e32 v4, v2
	s_andn2_b64 exec, exec, s[6:7]
	s_cbranch_execnz .LBB2_1681
.LBB2_1682:
	s_or_b64 exec, exec, s[8:9]
	s_getpc_b64 s[4:5]
	s_add_u32 s4, s4, .str.10@rel32@lo+4
	s_addc_u32 s5, s5, .str.10@rel32@hi+12
	s_cmp_lg_u64 s[4:5], 0
	s_cselect_b32 s10, 19, 0
	s_add_u32 s8, s26, 40
	s_addc_u32 s9, s27, 0
	s_getpc_b64 s[6:7]
	s_add_u32 s6, s6, __ockl_printf_append_string_n@rel32@lo+4
	s_addc_u32 s7, s7, __ockl_printf_append_string_n@rel32@hi+12
	v_mov_b32_e32 v2, s4
	v_mov_b32_e32 v3, s5
	;; [unrolled: 1-line block ×5, first 2 shown]
	s_swappc_b64 s[30:31], s[6:7]
	s_endpgm
	.section	.rodata,"a",@progbits
	.p2align	6, 0x0
	.amdhsa_kernel _Z8printAIGPKiS0_S0_iii
		.amdhsa_group_segment_fixed_size 0
		.amdhsa_private_segment_fixed_size 0
		.amdhsa_kernarg_size 296
		.amdhsa_user_sgpr_count 6
		.amdhsa_user_sgpr_private_segment_buffer 1
		.amdhsa_user_sgpr_dispatch_ptr 0
		.amdhsa_user_sgpr_queue_ptr 0
		.amdhsa_user_sgpr_kernarg_segment_ptr 1
		.amdhsa_user_sgpr_dispatch_id 0
		.amdhsa_user_sgpr_flat_scratch_init 0
		.amdhsa_user_sgpr_private_segment_size 0
		.amdhsa_uses_dynamic_stack 0
		.amdhsa_system_sgpr_private_segment_wavefront_offset 0
		.amdhsa_system_sgpr_workgroup_id_x 1
		.amdhsa_system_sgpr_workgroup_id_y 0
		.amdhsa_system_sgpr_workgroup_id_z 0
		.amdhsa_system_sgpr_workgroup_info 0
		.amdhsa_system_vgpr_workitem_id 0
		.amdhsa_next_free_vgpr 39
		.amdhsa_next_free_sgpr 50
		.amdhsa_reserve_vcc 1
		.amdhsa_reserve_flat_scratch 0
		.amdhsa_float_round_mode_32 0
		.amdhsa_float_round_mode_16_64 0
		.amdhsa_float_denorm_mode_32 3
		.amdhsa_float_denorm_mode_16_64 3
		.amdhsa_dx10_clamp 1
		.amdhsa_ieee_mode 1
		.amdhsa_fp16_overflow 0
		.amdhsa_exception_fp_ieee_invalid_op 0
		.amdhsa_exception_fp_denorm_src 0
		.amdhsa_exception_fp_ieee_div_zero 0
		.amdhsa_exception_fp_ieee_overflow 0
		.amdhsa_exception_fp_ieee_underflow 0
		.amdhsa_exception_fp_ieee_inexact 0
		.amdhsa_exception_int_div_zero 0
	.end_amdhsa_kernel
	.text
.Lfunc_end2:
	.size	_Z8printAIGPKiS0_S0_iii, .Lfunc_end2-_Z8printAIGPKiS0_S0_iii
                                        ; -- End function
	.set _Z8printAIGPKiS0_S0_iii.num_vgpr, max(39, .L__ockl_printf_append_string_n.num_vgpr)
	.set _Z8printAIGPKiS0_S0_iii.num_agpr, max(0, .L__ockl_printf_append_string_n.num_agpr)
	.set _Z8printAIGPKiS0_S0_iii.numbered_sgpr, max(50, .L__ockl_printf_append_string_n.numbered_sgpr)
	.set _Z8printAIGPKiS0_S0_iii.num_named_barrier, max(0, .L__ockl_printf_append_string_n.num_named_barrier)
	.set _Z8printAIGPKiS0_S0_iii.private_seg_size, 0+max(.L__ockl_printf_append_string_n.private_seg_size)
	.set _Z8printAIGPKiS0_S0_iii.uses_vcc, or(1, .L__ockl_printf_append_string_n.uses_vcc)
	.set _Z8printAIGPKiS0_S0_iii.uses_flat_scratch, or(0, .L__ockl_printf_append_string_n.uses_flat_scratch)
	.set _Z8printAIGPKiS0_S0_iii.has_dyn_sized_stack, or(0, .L__ockl_printf_append_string_n.has_dyn_sized_stack)
	.set _Z8printAIGPKiS0_S0_iii.has_recursion, or(0, .L__ockl_printf_append_string_n.has_recursion)
	.set _Z8printAIGPKiS0_S0_iii.has_indirect_call, or(0, .L__ockl_printf_append_string_n.has_indirect_call)
	.section	.AMDGPU.csdata,"",@progbits
; Kernel info:
; codeLenInByte = 56284
; TotalNumSgprs: 54
; NumVgprs: 39
; ScratchSize: 0
; MemoryBound: 0
; FloatMode: 240
; IeeeMode: 1
; LDSByteSize: 0 bytes/workgroup (compile time only)
; SGPRBlocks: 6
; VGPRBlocks: 9
; NumSGPRsForWavesPerEU: 54
; NumVGPRsForWavesPerEU: 39
; Occupancy: 6
; WaveLimiterHint : 1
; COMPUTE_PGM_RSRC2:SCRATCH_EN: 0
; COMPUTE_PGM_RSRC2:USER_SGPR: 6
; COMPUTE_PGM_RSRC2:TRAP_HANDLER: 0
; COMPUTE_PGM_RSRC2:TGID_X_EN: 1
; COMPUTE_PGM_RSRC2:TGID_Y_EN: 0
; COMPUTE_PGM_RSRC2:TGID_Z_EN: 0
; COMPUTE_PGM_RSRC2:TIDIG_COMP_CNT: 0
	.text
	.protected	_Z9printMffcPiS_S_PKiS1_iii ; -- Begin function _Z9printMffcPiS_S_PKiS1_iii
	.globl	_Z9printMffcPiS_S_PKiS1_iii
	.p2align	8
	.type	_Z9printMffcPiS_S_PKiS1_iii,@function
_Z9printMffcPiS_S_PKiS1_iii:            ; @_Z9printMffcPiS_S_PKiS1_iii
; %bb.0:
	s_load_dwordx2 s[10:11], s[4:5], 0x28
	s_waitcnt lgkmcnt(0)
	s_cmp_lt_i32 s10, 1
	s_cbranch_scc1 .LBB3_4
; %bb.1:
	s_load_dwordx4 s[0:3], s[4:5], 0x8
	s_add_i32 s12, s11, 1
	s_mov_b32 s8, 0
	s_mov_b32 s6, 0
.LBB3_2:                                ; =>This Inner Loop Header: Depth=1
	s_ashr_i32 s13, s12, 31
	s_lshl_b64 s[14:15], s[12:13], 2
	s_waitcnt lgkmcnt(0)
	s_add_u32 s16, s2, s14
	s_addc_u32 s17, s3, s15
	s_load_dword s7, s[16:17], 0x0
	s_waitcnt lgkmcnt(0)
	s_cmp_lt_i32 s7, 2
	s_cselect_b64 s[16:17], -1, 0
	s_add_u32 s14, s0, s14
	s_addc_u32 s15, s1, s15
	s_load_dword s7, s[14:15], 0x0
	s_waitcnt lgkmcnt(0)
	s_cmp_lg_u32 s7, -1
	s_cselect_b64 s[14:15], -1, 0
	s_and_b64 s[14:15], s[16:17], s[14:15]
	s_cmp_lg_u64 s[14:15], 0
	s_addc_u32 s8, s8, 0
	s_cmp_eq_u32 s7, -1
	s_cselect_b64 s[14:15], -1, 0
	s_cmp_lg_u64 s[14:15], 0
	s_addc_u32 s6, s6, 0
	s_add_i32 s10, s10, -1
	s_add_i32 s12, s12, 1
	s_cmp_eq_u32 s10, 0
	s_cbranch_scc0 .LBB3_2
; %bb.3:
	s_mov_b32 s9, 0
	s_mov_b32 s7, s9
	s_branch .LBB3_5
.LBB3_4:
	s_mov_b64 s[8:9], 0
	s_mov_b64 s[6:7], 0
.LBB3_5:
	s_load_dwordx2 s[2:3], s[4:5], 0x88
	v_mbcnt_lo_u32_b32 v0, -1, 0
	v_mbcnt_hi_u32_b32 v30, -1, v0
	v_readfirstlane_b32 s0, v30
	v_mov_b32_e32 v5, 0
	v_mov_b32_e32 v6, 0
	v_cmp_eq_u32_e64 s[0:1], s0, v30
	s_and_saveexec_b64 s[4:5], s[0:1]
	s_cbranch_execz .LBB3_11
; %bb.6:
	v_mov_b32_e32 v0, 0
	s_waitcnt lgkmcnt(0)
	global_load_dwordx2 v[3:4], v0, s[2:3] offset:24 glc
	s_waitcnt vmcnt(0)
	buffer_wbinvl1_vol
	global_load_dwordx2 v[1:2], v0, s[2:3] offset:40
	global_load_dwordx2 v[5:6], v0, s[2:3]
	s_waitcnt vmcnt(1)
	v_and_b32_e32 v1, v1, v3
	v_and_b32_e32 v2, v2, v4
	v_mul_lo_u32 v2, v2, 24
	v_mul_hi_u32 v7, v1, 24
	v_mul_lo_u32 v1, v1, 24
	v_add_u32_e32 v2, v7, v2
	s_waitcnt vmcnt(0)
	v_add_co_u32_e32 v1, vcc, v5, v1
	v_addc_co_u32_e32 v2, vcc, v6, v2, vcc
	global_load_dwordx2 v[1:2], v[1:2], off glc
	s_waitcnt vmcnt(0)
	global_atomic_cmpswap_x2 v[5:6], v0, v[1:4], s[2:3] offset:24 glc
	s_waitcnt vmcnt(0)
	buffer_wbinvl1_vol
	v_cmp_ne_u64_e32 vcc, v[5:6], v[3:4]
	s_and_saveexec_b64 s[10:11], vcc
	s_cbranch_execz .LBB3_10
; %bb.7:
	s_mov_b64 s[12:13], 0
.LBB3_8:                                ; =>This Inner Loop Header: Depth=1
	s_sleep 1
	global_load_dwordx2 v[1:2], v0, s[2:3] offset:40
	global_load_dwordx2 v[7:8], v0, s[2:3]
	v_mov_b32_e32 v3, v5
	v_mov_b32_e32 v4, v6
	s_waitcnt vmcnt(1)
	v_and_b32_e32 v1, v1, v3
	s_waitcnt vmcnt(0)
	v_mad_u64_u32 v[5:6], s[14:15], v1, 24, v[7:8]
	v_and_b32_e32 v2, v2, v4
	v_mov_b32_e32 v1, v6
	v_mad_u64_u32 v[1:2], s[14:15], v2, 24, v[1:2]
	v_mov_b32_e32 v6, v1
	global_load_dwordx2 v[1:2], v[5:6], off glc
	s_waitcnt vmcnt(0)
	global_atomic_cmpswap_x2 v[5:6], v0, v[1:4], s[2:3] offset:24 glc
	s_waitcnt vmcnt(0)
	buffer_wbinvl1_vol
	v_cmp_eq_u64_e32 vcc, v[5:6], v[3:4]
	s_or_b64 s[12:13], vcc, s[12:13]
	s_andn2_b64 exec, exec, s[12:13]
	s_cbranch_execnz .LBB3_8
; %bb.9:
	s_or_b64 exec, exec, s[12:13]
.LBB3_10:
	s_or_b64 exec, exec, s[10:11]
.LBB3_11:
	s_or_b64 exec, exec, s[4:5]
	v_mov_b32_e32 v4, 0
	s_waitcnt lgkmcnt(0)
	global_load_dwordx2 v[7:8], v4, s[2:3] offset:40
	global_load_dwordx4 v[0:3], v4, s[2:3]
	v_readfirstlane_b32 s5, v6
	v_readfirstlane_b32 s4, v5
	s_mov_b64 s[10:11], exec
	s_waitcnt vmcnt(1)
	v_readfirstlane_b32 s12, v7
	v_readfirstlane_b32 s13, v8
	s_and_b64 s[12:13], s[12:13], s[4:5]
	s_mul_i32 s14, s13, 24
	s_mul_hi_u32 s15, s12, 24
	s_mul_i32 s16, s12, 24
	s_add_i32 s14, s15, s14
	v_mov_b32_e32 v5, s14
	s_waitcnt vmcnt(0)
	v_add_co_u32_e32 v7, vcc, s16, v0
	v_addc_co_u32_e32 v8, vcc, v1, v5, vcc
	s_and_saveexec_b64 s[14:15], s[0:1]
	s_cbranch_execz .LBB3_13
; %bb.12:
	v_mov_b32_e32 v9, s10
	v_mov_b32_e32 v10, s11
	;; [unrolled: 1-line block ×4, first 2 shown]
	global_store_dwordx4 v[7:8], v[9:12], off offset:8
.LBB3_13:
	s_or_b64 exec, exec, s[14:15]
	s_lshl_b64 s[10:11], s[12:13], 12
	v_mov_b32_e32 v5, s11
	v_add_co_u32_e32 v2, vcc, s10, v2
	v_addc_co_u32_e32 v11, vcc, v3, v5, vcc
	v_lshlrev_b32_e32 v29, 6, v30
	s_mov_b32 s12, 0
	v_mov_b32_e32 v3, 33
	v_mov_b32_e32 v5, v4
	;; [unrolled: 1-line block ×3, first 2 shown]
	v_readfirstlane_b32 s10, v2
	v_readfirstlane_b32 s11, v11
	v_add_co_u32_e32 v9, vcc, v2, v29
	s_mov_b32 s13, s12
	s_mov_b32 s14, s12
	;; [unrolled: 1-line block ×3, first 2 shown]
	s_nop 0
	global_store_dwordx4 v29, v[3:6], s[10:11]
	v_mov_b32_e32 v2, s12
	v_addc_co_u32_e32 v10, vcc, 0, v11, vcc
	v_mov_b32_e32 v3, s13
	v_mov_b32_e32 v4, s14
	;; [unrolled: 1-line block ×3, first 2 shown]
	global_store_dwordx4 v29, v[2:5], s[10:11] offset:16
	global_store_dwordx4 v29, v[2:5], s[10:11] offset:32
	;; [unrolled: 1-line block ×3, first 2 shown]
	s_and_saveexec_b64 s[10:11], s[0:1]
	s_cbranch_execz .LBB3_21
; %bb.14:
	v_mov_b32_e32 v6, 0
	global_load_dwordx2 v[13:14], v6, s[2:3] offset:32 glc
	global_load_dwordx2 v[2:3], v6, s[2:3] offset:40
	v_mov_b32_e32 v11, s4
	v_mov_b32_e32 v12, s5
	s_waitcnt vmcnt(0)
	v_and_b32_e32 v2, s4, v2
	v_and_b32_e32 v3, s5, v3
	v_mul_lo_u32 v3, v3, 24
	v_mul_hi_u32 v4, v2, 24
	v_mul_lo_u32 v2, v2, 24
	v_add_u32_e32 v3, v4, v3
	v_add_co_u32_e32 v4, vcc, v0, v2
	v_addc_co_u32_e32 v5, vcc, v1, v3, vcc
	global_store_dwordx2 v[4:5], v[13:14], off
	s_waitcnt vmcnt(0)
	global_atomic_cmpswap_x2 v[2:3], v6, v[11:14], s[2:3] offset:32 glc
	s_waitcnt vmcnt(0)
	v_cmp_ne_u64_e32 vcc, v[2:3], v[13:14]
	s_and_saveexec_b64 s[12:13], vcc
	s_cbranch_execz .LBB3_17
; %bb.15:
	s_mov_b64 s[14:15], 0
.LBB3_16:                               ; =>This Inner Loop Header: Depth=1
	s_sleep 1
	global_store_dwordx2 v[4:5], v[2:3], off
	v_mov_b32_e32 v0, s4
	v_mov_b32_e32 v1, s5
	s_waitcnt vmcnt(0)
	global_atomic_cmpswap_x2 v[0:1], v6, v[0:3], s[2:3] offset:32 glc
	s_waitcnt vmcnt(0)
	v_cmp_eq_u64_e32 vcc, v[0:1], v[2:3]
	v_mov_b32_e32 v3, v1
	s_or_b64 s[14:15], vcc, s[14:15]
	v_mov_b32_e32 v2, v0
	s_andn2_b64 exec, exec, s[14:15]
	s_cbranch_execnz .LBB3_16
.LBB3_17:
	s_or_b64 exec, exec, s[12:13]
	v_mov_b32_e32 v3, 0
	global_load_dwordx2 v[0:1], v3, s[2:3] offset:16
	s_mov_b64 s[12:13], exec
	v_mbcnt_lo_u32_b32 v2, s12, 0
	v_mbcnt_hi_u32_b32 v2, s13, v2
	v_cmp_eq_u32_e32 vcc, 0, v2
	s_and_saveexec_b64 s[14:15], vcc
	s_cbranch_execz .LBB3_19
; %bb.18:
	s_bcnt1_i32_b64 s12, s[12:13]
	v_mov_b32_e32 v2, s12
	s_waitcnt vmcnt(0)
	global_atomic_add_x2 v[0:1], v[2:3], off offset:8
.LBB3_19:
	s_or_b64 exec, exec, s[14:15]
	s_waitcnt vmcnt(0)
	global_load_dwordx2 v[2:3], v[0:1], off offset:16
	s_waitcnt vmcnt(0)
	v_cmp_eq_u64_e32 vcc, 0, v[2:3]
	s_cbranch_vccnz .LBB3_21
; %bb.20:
	global_load_dword v0, v[0:1], off offset:24
	v_mov_b32_e32 v1, 0
	s_waitcnt vmcnt(0)
	v_readfirstlane_b32 s12, v0
	s_and_b32 m0, s12, 0xffffff
	global_store_dwordx2 v[2:3], v[0:1], off
	s_sendmsg sendmsg(MSG_INTERRUPT)
.LBB3_21:
	s_or_b64 exec, exec, s[10:11]
	s_branch .LBB3_25
.LBB3_22:                               ;   in Loop: Header=BB3_25 Depth=1
	s_or_b64 exec, exec, s[10:11]
	v_readfirstlane_b32 s10, v0
	s_cmp_eq_u32 s10, 0
	s_cbranch_scc1 .LBB3_24
; %bb.23:                               ;   in Loop: Header=BB3_25 Depth=1
	s_sleep 1
	s_cbranch_execnz .LBB3_25
	s_branch .LBB3_27
.LBB3_24:
	s_branch .LBB3_27
.LBB3_25:                               ; =>This Inner Loop Header: Depth=1
	v_mov_b32_e32 v0, 1
	s_and_saveexec_b64 s[10:11], s[0:1]
	s_cbranch_execz .LBB3_22
; %bb.26:                               ;   in Loop: Header=BB3_25 Depth=1
	global_load_dword v0, v[7:8], off offset:20 glc
	s_waitcnt vmcnt(0)
	buffer_wbinvl1_vol
	v_and_b32_e32 v0, 1, v0
	s_branch .LBB3_22
.LBB3_27:
	global_load_dwordx2 v[0:1], v[9:10], off
	s_and_saveexec_b64 s[10:11], s[0:1]
	s_cbranch_execz .LBB3_30
; %bb.28:
	v_mov_b32_e32 v8, 0
	global_load_dwordx2 v[2:3], v8, s[2:3] offset:40
	global_load_dwordx2 v[11:12], v8, s[2:3] offset:24 glc
	global_load_dwordx2 v[4:5], v8, s[2:3]
	s_waitcnt vmcnt(2)
	v_readfirstlane_b32 s12, v2
	v_readfirstlane_b32 s13, v3
	s_add_u32 s14, s12, 1
	s_addc_u32 s15, s13, 0
	s_add_u32 s0, s14, s4
	s_addc_u32 s1, s15, s5
	s_cmp_eq_u64 s[0:1], 0
	s_cselect_b32 s1, s15, s1
	s_cselect_b32 s0, s14, s0
	s_and_b64 s[4:5], s[0:1], s[12:13]
	s_mul_i32 s5, s5, 24
	s_mul_hi_u32 s12, s4, 24
	s_mul_i32 s4, s4, 24
	s_add_i32 s5, s12, s5
	v_mov_b32_e32 v2, s5
	s_waitcnt vmcnt(0)
	v_add_co_u32_e32 v6, vcc, s4, v4
	v_addc_co_u32_e32 v7, vcc, v5, v2, vcc
	v_mov_b32_e32 v9, s0
	global_store_dwordx2 v[6:7], v[11:12], off
	v_mov_b32_e32 v10, s1
	s_waitcnt vmcnt(0)
	global_atomic_cmpswap_x2 v[4:5], v8, v[9:12], s[2:3] offset:24 glc
	s_mov_b64 s[4:5], 0
	s_waitcnt vmcnt(0)
	v_cmp_ne_u64_e32 vcc, v[4:5], v[11:12]
	s_and_b64 exec, exec, vcc
	s_cbranch_execz .LBB3_30
.LBB3_29:                               ; =>This Inner Loop Header: Depth=1
	s_sleep 1
	global_store_dwordx2 v[6:7], v[4:5], off
	v_mov_b32_e32 v2, s0
	v_mov_b32_e32 v3, s1
	s_waitcnt vmcnt(0)
	global_atomic_cmpswap_x2 v[2:3], v8, v[2:5], s[2:3] offset:24 glc
	s_waitcnt vmcnt(0)
	v_cmp_eq_u64_e32 vcc, v[2:3], v[4:5]
	v_mov_b32_e32 v5, v3
	s_or_b64 s[4:5], vcc, s[4:5]
	v_mov_b32_e32 v4, v2
	s_andn2_b64 exec, exec, s[4:5]
	s_cbranch_execnz .LBB3_29
.LBB3_30:
	s_or_b64 exec, exec, s[10:11]
	s_getpc_b64 s[4:5]
	s_add_u32 s4, s4, .str.11@rel32@lo+4
	s_addc_u32 s5, s5, .str.11@rel32@hi+12
	s_cmp_lg_u64 s[4:5], 0
	s_cbranch_scc0 .LBB3_116
; %bb.31:
	s_waitcnt vmcnt(0)
	v_and_b32_e32 v31, 2, v0
	v_mov_b32_e32 v26, 0
	v_and_b32_e32 v2, -3, v0
	v_mov_b32_e32 v3, v1
	s_mov_b64 s[10:11], 39
	v_mov_b32_e32 v8, 2
	v_mov_b32_e32 v9, 1
	s_branch .LBB3_33
.LBB3_32:                               ;   in Loop: Header=BB3_33 Depth=1
	s_or_b64 exec, exec, s[16:17]
	s_sub_u32 s10, s10, s12
	s_subb_u32 s11, s11, s13
	s_add_u32 s4, s4, s12
	s_addc_u32 s5, s5, s13
	s_cmp_lg_u64 s[10:11], 0
	s_cbranch_scc0 .LBB3_115
.LBB3_33:                               ; =>This Loop Header: Depth=1
                                        ;     Child Loop BB3_36 Depth 2
                                        ;     Child Loop BB3_44 Depth 2
	;; [unrolled: 1-line block ×11, first 2 shown]
	v_cmp_lt_u64_e64 s[0:1], s[10:11], 56
	v_cmp_gt_u64_e64 s[14:15], s[10:11], 7
	s_and_b64 s[0:1], s[0:1], exec
	s_cselect_b32 s13, s11, 0
	s_cselect_b32 s12, s10, 56
	s_add_u32 s0, s4, 8
	s_addc_u32 s1, s5, 0
	s_and_b64 vcc, exec, s[14:15]
	s_cbranch_vccnz .LBB3_37
; %bb.34:                               ;   in Loop: Header=BB3_33 Depth=1
	s_cmp_eq_u64 s[10:11], 0
	s_cbranch_scc1 .LBB3_38
; %bb.35:                               ;   in Loop: Header=BB3_33 Depth=1
	v_mov_b32_e32 v4, 0
	s_lshl_b64 s[0:1], s[12:13], 3
	s_mov_b64 s[14:15], 0
	v_mov_b32_e32 v5, 0
	s_mov_b64 s[16:17], s[4:5]
.LBB3_36:                               ;   Parent Loop BB3_33 Depth=1
                                        ; =>  This Inner Loop Header: Depth=2
	global_load_ubyte v6, v26, s[16:17]
	s_waitcnt vmcnt(0)
	v_and_b32_e32 v25, 0xffff, v6
	v_lshlrev_b64 v[6:7], s14, v[25:26]
	s_add_u32 s14, s14, 8
	s_addc_u32 s15, s15, 0
	s_add_u32 s16, s16, 1
	s_addc_u32 s17, s17, 0
	v_or_b32_e32 v4, v6, v4
	s_cmp_lg_u32 s0, s14
	v_or_b32_e32 v5, v7, v5
	s_cbranch_scc1 .LBB3_36
	s_branch .LBB3_39
.LBB3_37:                               ;   in Loop: Header=BB3_33 Depth=1
	s_mov_b32 s18, 0
	s_branch .LBB3_40
.LBB3_38:                               ;   in Loop: Header=BB3_33 Depth=1
	v_mov_b32_e32 v4, 0
	v_mov_b32_e32 v5, 0
.LBB3_39:                               ;   in Loop: Header=BB3_33 Depth=1
	s_mov_b64 s[0:1], s[4:5]
	s_mov_b32 s18, 0
	s_cbranch_execnz .LBB3_41
.LBB3_40:                               ;   in Loop: Header=BB3_33 Depth=1
	global_load_dwordx2 v[4:5], v26, s[4:5]
	s_add_i32 s18, s12, -8
.LBB3_41:                               ;   in Loop: Header=BB3_33 Depth=1
	s_add_u32 s14, s0, 8
	s_addc_u32 s15, s1, 0
	s_cmp_gt_u32 s18, 7
	s_cbranch_scc1 .LBB3_45
; %bb.42:                               ;   in Loop: Header=BB3_33 Depth=1
	s_cmp_eq_u32 s18, 0
	s_cbranch_scc1 .LBB3_46
; %bb.43:                               ;   in Loop: Header=BB3_33 Depth=1
	v_mov_b32_e32 v10, 0
	s_mov_b64 s[14:15], 0
	v_mov_b32_e32 v11, 0
	s_mov_b64 s[16:17], 0
.LBB3_44:                               ;   Parent Loop BB3_33 Depth=1
                                        ; =>  This Inner Loop Header: Depth=2
	s_add_u32 s20, s0, s16
	s_addc_u32 s21, s1, s17
	global_load_ubyte v6, v26, s[20:21]
	s_add_u32 s16, s16, 1
	s_addc_u32 s17, s17, 0
	s_waitcnt vmcnt(0)
	v_and_b32_e32 v25, 0xffff, v6
	v_lshlrev_b64 v[6:7], s14, v[25:26]
	s_add_u32 s14, s14, 8
	s_addc_u32 s15, s15, 0
	v_or_b32_e32 v10, v6, v10
	s_cmp_lg_u32 s18, s16
	v_or_b32_e32 v11, v7, v11
	s_cbranch_scc1 .LBB3_44
	s_branch .LBB3_47
.LBB3_45:                               ;   in Loop: Header=BB3_33 Depth=1
                                        ; implicit-def: $vgpr10_vgpr11
	s_mov_b32 s19, 0
	s_branch .LBB3_48
.LBB3_46:                               ;   in Loop: Header=BB3_33 Depth=1
	v_mov_b32_e32 v10, 0
	v_mov_b32_e32 v11, 0
.LBB3_47:                               ;   in Loop: Header=BB3_33 Depth=1
	s_mov_b64 s[14:15], s[0:1]
	s_mov_b32 s19, 0
	s_cbranch_execnz .LBB3_49
.LBB3_48:                               ;   in Loop: Header=BB3_33 Depth=1
	global_load_dwordx2 v[10:11], v26, s[0:1]
	s_add_i32 s19, s18, -8
.LBB3_49:                               ;   in Loop: Header=BB3_33 Depth=1
	s_add_u32 s0, s14, 8
	s_addc_u32 s1, s15, 0
	s_cmp_gt_u32 s19, 7
	s_cbranch_scc1 .LBB3_53
; %bb.50:                               ;   in Loop: Header=BB3_33 Depth=1
	s_cmp_eq_u32 s19, 0
	s_cbranch_scc1 .LBB3_54
; %bb.51:                               ;   in Loop: Header=BB3_33 Depth=1
	v_mov_b32_e32 v12, 0
	s_mov_b64 s[0:1], 0
	v_mov_b32_e32 v13, 0
	s_mov_b64 s[16:17], 0
.LBB3_52:                               ;   Parent Loop BB3_33 Depth=1
                                        ; =>  This Inner Loop Header: Depth=2
	s_add_u32 s20, s14, s16
	s_addc_u32 s21, s15, s17
	global_load_ubyte v6, v26, s[20:21]
	s_add_u32 s16, s16, 1
	s_addc_u32 s17, s17, 0
	s_waitcnt vmcnt(0)
	v_and_b32_e32 v25, 0xffff, v6
	v_lshlrev_b64 v[6:7], s0, v[25:26]
	s_add_u32 s0, s0, 8
	s_addc_u32 s1, s1, 0
	v_or_b32_e32 v12, v6, v12
	s_cmp_lg_u32 s19, s16
	v_or_b32_e32 v13, v7, v13
	s_cbranch_scc1 .LBB3_52
	s_branch .LBB3_55
.LBB3_53:                               ;   in Loop: Header=BB3_33 Depth=1
	s_mov_b32 s18, 0
	s_branch .LBB3_56
.LBB3_54:                               ;   in Loop: Header=BB3_33 Depth=1
	v_mov_b32_e32 v12, 0
	v_mov_b32_e32 v13, 0
.LBB3_55:                               ;   in Loop: Header=BB3_33 Depth=1
	s_mov_b64 s[0:1], s[14:15]
	s_mov_b32 s18, 0
	s_cbranch_execnz .LBB3_57
.LBB3_56:                               ;   in Loop: Header=BB3_33 Depth=1
	global_load_dwordx2 v[12:13], v26, s[14:15]
	s_add_i32 s18, s19, -8
.LBB3_57:                               ;   in Loop: Header=BB3_33 Depth=1
	s_add_u32 s14, s0, 8
	s_addc_u32 s15, s1, 0
	s_cmp_gt_u32 s18, 7
	s_cbranch_scc1 .LBB3_61
; %bb.58:                               ;   in Loop: Header=BB3_33 Depth=1
	s_cmp_eq_u32 s18, 0
	s_cbranch_scc1 .LBB3_62
; %bb.59:                               ;   in Loop: Header=BB3_33 Depth=1
	v_mov_b32_e32 v14, 0
	s_mov_b64 s[14:15], 0
	v_mov_b32_e32 v15, 0
	s_mov_b64 s[16:17], 0
.LBB3_60:                               ;   Parent Loop BB3_33 Depth=1
                                        ; =>  This Inner Loop Header: Depth=2
	s_add_u32 s20, s0, s16
	s_addc_u32 s21, s1, s17
	global_load_ubyte v6, v26, s[20:21]
	s_add_u32 s16, s16, 1
	s_addc_u32 s17, s17, 0
	s_waitcnt vmcnt(0)
	v_and_b32_e32 v25, 0xffff, v6
	v_lshlrev_b64 v[6:7], s14, v[25:26]
	s_add_u32 s14, s14, 8
	s_addc_u32 s15, s15, 0
	v_or_b32_e32 v14, v6, v14
	s_cmp_lg_u32 s18, s16
	v_or_b32_e32 v15, v7, v15
	s_cbranch_scc1 .LBB3_60
	s_branch .LBB3_63
.LBB3_61:                               ;   in Loop: Header=BB3_33 Depth=1
                                        ; implicit-def: $vgpr14_vgpr15
	s_mov_b32 s19, 0
	s_branch .LBB3_64
.LBB3_62:                               ;   in Loop: Header=BB3_33 Depth=1
	v_mov_b32_e32 v14, 0
	v_mov_b32_e32 v15, 0
.LBB3_63:                               ;   in Loop: Header=BB3_33 Depth=1
	s_mov_b64 s[14:15], s[0:1]
	s_mov_b32 s19, 0
	s_cbranch_execnz .LBB3_65
.LBB3_64:                               ;   in Loop: Header=BB3_33 Depth=1
	global_load_dwordx2 v[14:15], v26, s[0:1]
	s_add_i32 s19, s18, -8
.LBB3_65:                               ;   in Loop: Header=BB3_33 Depth=1
	s_add_u32 s0, s14, 8
	s_addc_u32 s1, s15, 0
	s_cmp_gt_u32 s19, 7
	s_cbranch_scc1 .LBB3_69
; %bb.66:                               ;   in Loop: Header=BB3_33 Depth=1
	s_cmp_eq_u32 s19, 0
	s_cbranch_scc1 .LBB3_70
; %bb.67:                               ;   in Loop: Header=BB3_33 Depth=1
	v_mov_b32_e32 v16, 0
	s_mov_b64 s[0:1], 0
	v_mov_b32_e32 v17, 0
	s_mov_b64 s[16:17], 0
.LBB3_68:                               ;   Parent Loop BB3_33 Depth=1
                                        ; =>  This Inner Loop Header: Depth=2
	s_add_u32 s20, s14, s16
	s_addc_u32 s21, s15, s17
	global_load_ubyte v6, v26, s[20:21]
	s_add_u32 s16, s16, 1
	s_addc_u32 s17, s17, 0
	s_waitcnt vmcnt(0)
	v_and_b32_e32 v25, 0xffff, v6
	v_lshlrev_b64 v[6:7], s0, v[25:26]
	s_add_u32 s0, s0, 8
	s_addc_u32 s1, s1, 0
	v_or_b32_e32 v16, v6, v16
	s_cmp_lg_u32 s19, s16
	v_or_b32_e32 v17, v7, v17
	s_cbranch_scc1 .LBB3_68
	s_branch .LBB3_71
.LBB3_69:                               ;   in Loop: Header=BB3_33 Depth=1
	s_mov_b32 s18, 0
	s_branch .LBB3_72
.LBB3_70:                               ;   in Loop: Header=BB3_33 Depth=1
	v_mov_b32_e32 v16, 0
	v_mov_b32_e32 v17, 0
.LBB3_71:                               ;   in Loop: Header=BB3_33 Depth=1
	s_mov_b64 s[0:1], s[14:15]
	s_mov_b32 s18, 0
	s_cbranch_execnz .LBB3_73
.LBB3_72:                               ;   in Loop: Header=BB3_33 Depth=1
	global_load_dwordx2 v[16:17], v26, s[14:15]
	s_add_i32 s18, s19, -8
.LBB3_73:                               ;   in Loop: Header=BB3_33 Depth=1
	s_add_u32 s14, s0, 8
	s_addc_u32 s15, s1, 0
	s_cmp_gt_u32 s18, 7
	s_cbranch_scc1 .LBB3_77
; %bb.74:                               ;   in Loop: Header=BB3_33 Depth=1
	s_cmp_eq_u32 s18, 0
	s_cbranch_scc1 .LBB3_78
; %bb.75:                               ;   in Loop: Header=BB3_33 Depth=1
	v_mov_b32_e32 v18, 0
	s_mov_b64 s[14:15], 0
	v_mov_b32_e32 v19, 0
	s_mov_b64 s[16:17], 0
.LBB3_76:                               ;   Parent Loop BB3_33 Depth=1
                                        ; =>  This Inner Loop Header: Depth=2
	s_add_u32 s20, s0, s16
	s_addc_u32 s21, s1, s17
	global_load_ubyte v6, v26, s[20:21]
	s_add_u32 s16, s16, 1
	s_addc_u32 s17, s17, 0
	s_waitcnt vmcnt(0)
	v_and_b32_e32 v25, 0xffff, v6
	v_lshlrev_b64 v[6:7], s14, v[25:26]
	s_add_u32 s14, s14, 8
	s_addc_u32 s15, s15, 0
	v_or_b32_e32 v18, v6, v18
	s_cmp_lg_u32 s18, s16
	v_or_b32_e32 v19, v7, v19
	s_cbranch_scc1 .LBB3_76
	s_branch .LBB3_79
.LBB3_77:                               ;   in Loop: Header=BB3_33 Depth=1
                                        ; implicit-def: $vgpr18_vgpr19
	s_mov_b32 s19, 0
	s_branch .LBB3_80
.LBB3_78:                               ;   in Loop: Header=BB3_33 Depth=1
	v_mov_b32_e32 v18, 0
	v_mov_b32_e32 v19, 0
.LBB3_79:                               ;   in Loop: Header=BB3_33 Depth=1
	s_mov_b64 s[14:15], s[0:1]
	s_mov_b32 s19, 0
	s_cbranch_execnz .LBB3_81
.LBB3_80:                               ;   in Loop: Header=BB3_33 Depth=1
	global_load_dwordx2 v[18:19], v26, s[0:1]
	s_add_i32 s19, s18, -8
.LBB3_81:                               ;   in Loop: Header=BB3_33 Depth=1
	s_cmp_gt_u32 s19, 7
	s_cbranch_scc1 .LBB3_85
; %bb.82:                               ;   in Loop: Header=BB3_33 Depth=1
	s_cmp_eq_u32 s19, 0
	s_cbranch_scc1 .LBB3_86
; %bb.83:                               ;   in Loop: Header=BB3_33 Depth=1
	v_mov_b32_e32 v20, 0
	s_mov_b64 s[0:1], 0
	v_mov_b32_e32 v21, 0
	s_mov_b64 s[16:17], s[14:15]
.LBB3_84:                               ;   Parent Loop BB3_33 Depth=1
                                        ; =>  This Inner Loop Header: Depth=2
	global_load_ubyte v6, v26, s[16:17]
	s_add_i32 s19, s19, -1
	s_waitcnt vmcnt(0)
	v_and_b32_e32 v25, 0xffff, v6
	v_lshlrev_b64 v[6:7], s0, v[25:26]
	s_add_u32 s0, s0, 8
	s_addc_u32 s1, s1, 0
	s_add_u32 s16, s16, 1
	s_addc_u32 s17, s17, 0
	v_or_b32_e32 v20, v6, v20
	s_cmp_lg_u32 s19, 0
	v_or_b32_e32 v21, v7, v21
	s_cbranch_scc1 .LBB3_84
	s_branch .LBB3_87
.LBB3_85:                               ;   in Loop: Header=BB3_33 Depth=1
	s_branch .LBB3_88
.LBB3_86:                               ;   in Loop: Header=BB3_33 Depth=1
	v_mov_b32_e32 v20, 0
	v_mov_b32_e32 v21, 0
.LBB3_87:                               ;   in Loop: Header=BB3_33 Depth=1
	s_cbranch_execnz .LBB3_89
.LBB3_88:                               ;   in Loop: Header=BB3_33 Depth=1
	global_load_dwordx2 v[20:21], v26, s[14:15]
.LBB3_89:                               ;   in Loop: Header=BB3_33 Depth=1
	v_readfirstlane_b32 s0, v30
	v_mov_b32_e32 v6, 0
	v_mov_b32_e32 v7, 0
	v_cmp_eq_u32_e64 s[0:1], s0, v30
	s_and_saveexec_b64 s[14:15], s[0:1]
	s_cbranch_execz .LBB3_95
; %bb.90:                               ;   in Loop: Header=BB3_33 Depth=1
	global_load_dwordx2 v[24:25], v26, s[2:3] offset:24 glc
	s_waitcnt vmcnt(0)
	buffer_wbinvl1_vol
	global_load_dwordx2 v[6:7], v26, s[2:3] offset:40
	global_load_dwordx2 v[22:23], v26, s[2:3]
	s_waitcnt vmcnt(1)
	v_and_b32_e32 v6, v6, v24
	v_and_b32_e32 v7, v7, v25
	v_mul_lo_u32 v7, v7, 24
	v_mul_hi_u32 v27, v6, 24
	v_mul_lo_u32 v6, v6, 24
	v_add_u32_e32 v7, v27, v7
	s_waitcnt vmcnt(0)
	v_add_co_u32_e32 v6, vcc, v22, v6
	v_addc_co_u32_e32 v7, vcc, v23, v7, vcc
	global_load_dwordx2 v[22:23], v[6:7], off glc
	s_waitcnt vmcnt(0)
	global_atomic_cmpswap_x2 v[6:7], v26, v[22:25], s[2:3] offset:24 glc
	s_waitcnt vmcnt(0)
	buffer_wbinvl1_vol
	v_cmp_ne_u64_e32 vcc, v[6:7], v[24:25]
	s_and_saveexec_b64 s[16:17], vcc
	s_cbranch_execz .LBB3_94
; %bb.91:                               ;   in Loop: Header=BB3_33 Depth=1
	s_mov_b64 s[18:19], 0
.LBB3_92:                               ;   Parent Loop BB3_33 Depth=1
                                        ; =>  This Inner Loop Header: Depth=2
	s_sleep 1
	global_load_dwordx2 v[22:23], v26, s[2:3] offset:40
	global_load_dwordx2 v[27:28], v26, s[2:3]
	v_mov_b32_e32 v25, v7
	v_mov_b32_e32 v24, v6
	s_waitcnt vmcnt(1)
	v_and_b32_e32 v6, v22, v24
	s_waitcnt vmcnt(0)
	v_mad_u64_u32 v[6:7], s[20:21], v6, 24, v[27:28]
	v_and_b32_e32 v22, v23, v25
	v_mad_u64_u32 v[22:23], s[20:21], v22, 24, v[7:8]
	v_mov_b32_e32 v7, v22
	global_load_dwordx2 v[22:23], v[6:7], off glc
	s_waitcnt vmcnt(0)
	global_atomic_cmpswap_x2 v[6:7], v26, v[22:25], s[2:3] offset:24 glc
	s_waitcnt vmcnt(0)
	buffer_wbinvl1_vol
	v_cmp_eq_u64_e32 vcc, v[6:7], v[24:25]
	s_or_b64 s[18:19], vcc, s[18:19]
	s_andn2_b64 exec, exec, s[18:19]
	s_cbranch_execnz .LBB3_92
; %bb.93:                               ;   in Loop: Header=BB3_33 Depth=1
	s_or_b64 exec, exec, s[18:19]
.LBB3_94:                               ;   in Loop: Header=BB3_33 Depth=1
	s_or_b64 exec, exec, s[16:17]
.LBB3_95:                               ;   in Loop: Header=BB3_33 Depth=1
	s_or_b64 exec, exec, s[14:15]
	global_load_dwordx2 v[27:28], v26, s[2:3] offset:40
	global_load_dwordx4 v[22:25], v26, s[2:3]
	v_readfirstlane_b32 s15, v7
	v_readfirstlane_b32 s14, v6
	s_mov_b64 s[16:17], exec
	s_waitcnt vmcnt(1)
	v_readfirstlane_b32 s18, v27
	v_readfirstlane_b32 s19, v28
	s_and_b64 s[18:19], s[18:19], s[14:15]
	s_mul_i32 s20, s19, 24
	s_mul_hi_u32 s21, s18, 24
	s_mul_i32 s22, s18, 24
	s_add_i32 s20, s21, s20
	v_mov_b32_e32 v6, s20
	s_waitcnt vmcnt(0)
	v_add_co_u32_e32 v27, vcc, s22, v22
	v_addc_co_u32_e32 v28, vcc, v23, v6, vcc
	s_and_saveexec_b64 s[20:21], s[0:1]
	s_cbranch_execz .LBB3_97
; %bb.96:                               ;   in Loop: Header=BB3_33 Depth=1
	v_mov_b32_e32 v6, s16
	v_mov_b32_e32 v7, s17
	global_store_dwordx4 v[27:28], v[6:9], off offset:8
.LBB3_97:                               ;   in Loop: Header=BB3_33 Depth=1
	s_or_b64 exec, exec, s[20:21]
	s_lshl_b64 s[16:17], s[18:19], 12
	v_mov_b32_e32 v6, s17
	v_add_co_u32_e32 v24, vcc, s16, v24
	v_addc_co_u32_e32 v32, vcc, v25, v6, vcc
	v_cmp_lt_u64_e64 vcc, s[10:11], 57
	s_lshl_b32 s16, s12, 2
	v_cndmask_b32_e32 v6, 0, v31, vcc
	s_add_i32 s16, s16, 28
	v_and_b32_e32 v2, 0xffffff1f, v2
	s_and_b32 s16, s16, 0x1e0
	v_or_b32_e32 v2, v2, v6
	v_or_b32_e32 v2, s16, v2
	v_readfirstlane_b32 s16, v24
	v_readfirstlane_b32 s17, v32
	s_nop 4
	global_store_dwordx4 v29, v[2:5], s[16:17]
	global_store_dwordx4 v29, v[10:13], s[16:17] offset:16
	global_store_dwordx4 v29, v[14:17], s[16:17] offset:32
	global_store_dwordx4 v29, v[18:21], s[16:17] offset:48
	s_and_saveexec_b64 s[16:17], s[0:1]
	s_cbranch_execz .LBB3_105
; %bb.98:                               ;   in Loop: Header=BB3_33 Depth=1
	global_load_dwordx2 v[12:13], v26, s[2:3] offset:32 glc
	global_load_dwordx2 v[2:3], v26, s[2:3] offset:40
	v_mov_b32_e32 v10, s14
	v_mov_b32_e32 v11, s15
	s_waitcnt vmcnt(0)
	v_readfirstlane_b32 s18, v2
	v_readfirstlane_b32 s19, v3
	s_and_b64 s[18:19], s[18:19], s[14:15]
	s_mul_i32 s19, s19, 24
	s_mul_hi_u32 s20, s18, 24
	s_mul_i32 s18, s18, 24
	s_add_i32 s19, s20, s19
	v_mov_b32_e32 v2, s19
	v_add_co_u32_e32 v6, vcc, s18, v22
	v_addc_co_u32_e32 v7, vcc, v23, v2, vcc
	global_store_dwordx2 v[6:7], v[12:13], off
	s_waitcnt vmcnt(0)
	global_atomic_cmpswap_x2 v[4:5], v26, v[10:13], s[2:3] offset:32 glc
	s_waitcnt vmcnt(0)
	v_cmp_ne_u64_e32 vcc, v[4:5], v[12:13]
	s_and_saveexec_b64 s[18:19], vcc
	s_cbranch_execz .LBB3_101
; %bb.99:                               ;   in Loop: Header=BB3_33 Depth=1
	s_mov_b64 s[20:21], 0
.LBB3_100:                              ;   Parent Loop BB3_33 Depth=1
                                        ; =>  This Inner Loop Header: Depth=2
	s_sleep 1
	global_store_dwordx2 v[6:7], v[4:5], off
	v_mov_b32_e32 v2, s14
	v_mov_b32_e32 v3, s15
	s_waitcnt vmcnt(0)
	global_atomic_cmpswap_x2 v[2:3], v26, v[2:5], s[2:3] offset:32 glc
	s_waitcnt vmcnt(0)
	v_cmp_eq_u64_e32 vcc, v[2:3], v[4:5]
	v_mov_b32_e32 v5, v3
	s_or_b64 s[20:21], vcc, s[20:21]
	v_mov_b32_e32 v4, v2
	s_andn2_b64 exec, exec, s[20:21]
	s_cbranch_execnz .LBB3_100
.LBB3_101:                              ;   in Loop: Header=BB3_33 Depth=1
	s_or_b64 exec, exec, s[18:19]
	global_load_dwordx2 v[2:3], v26, s[2:3] offset:16
	s_mov_b64 s[20:21], exec
	v_mbcnt_lo_u32_b32 v4, s20, 0
	v_mbcnt_hi_u32_b32 v4, s21, v4
	v_cmp_eq_u32_e32 vcc, 0, v4
	s_and_saveexec_b64 s[18:19], vcc
	s_cbranch_execz .LBB3_103
; %bb.102:                              ;   in Loop: Header=BB3_33 Depth=1
	s_bcnt1_i32_b64 s20, s[20:21]
	v_mov_b32_e32 v25, s20
	s_waitcnt vmcnt(0)
	global_atomic_add_x2 v[2:3], v[25:26], off offset:8
.LBB3_103:                              ;   in Loop: Header=BB3_33 Depth=1
	s_or_b64 exec, exec, s[18:19]
	s_waitcnt vmcnt(0)
	global_load_dwordx2 v[4:5], v[2:3], off offset:16
	s_waitcnt vmcnt(0)
	v_cmp_eq_u64_e32 vcc, 0, v[4:5]
	s_cbranch_vccnz .LBB3_105
; %bb.104:                              ;   in Loop: Header=BB3_33 Depth=1
	global_load_dword v25, v[2:3], off offset:24
	s_waitcnt vmcnt(0)
	v_readfirstlane_b32 s18, v25
	s_and_b32 m0, s18, 0xffffff
	global_store_dwordx2 v[4:5], v[25:26], off
	s_sendmsg sendmsg(MSG_INTERRUPT)
.LBB3_105:                              ;   in Loop: Header=BB3_33 Depth=1
	s_or_b64 exec, exec, s[16:17]
	v_add_co_u32_e32 v2, vcc, v24, v29
	v_addc_co_u32_e32 v3, vcc, 0, v32, vcc
	s_branch .LBB3_109
.LBB3_106:                              ;   in Loop: Header=BB3_109 Depth=2
	s_or_b64 exec, exec, s[16:17]
	v_readfirstlane_b32 s16, v4
	s_cmp_eq_u32 s16, 0
	s_cbranch_scc1 .LBB3_108
; %bb.107:                              ;   in Loop: Header=BB3_109 Depth=2
	s_sleep 1
	s_cbranch_execnz .LBB3_109
	s_branch .LBB3_111
.LBB3_108:                              ;   in Loop: Header=BB3_33 Depth=1
	s_branch .LBB3_111
.LBB3_109:                              ;   Parent Loop BB3_33 Depth=1
                                        ; =>  This Inner Loop Header: Depth=2
	v_mov_b32_e32 v4, 1
	s_and_saveexec_b64 s[16:17], s[0:1]
	s_cbranch_execz .LBB3_106
; %bb.110:                              ;   in Loop: Header=BB3_109 Depth=2
	global_load_dword v4, v[27:28], off offset:20 glc
	s_waitcnt vmcnt(0)
	buffer_wbinvl1_vol
	v_and_b32_e32 v4, 1, v4
	s_branch .LBB3_106
.LBB3_111:                              ;   in Loop: Header=BB3_33 Depth=1
	global_load_dwordx2 v[2:3], v[2:3], off
	s_and_saveexec_b64 s[16:17], s[0:1]
	s_cbranch_execz .LBB3_32
; %bb.112:                              ;   in Loop: Header=BB3_33 Depth=1
	global_load_dwordx2 v[4:5], v26, s[2:3] offset:40
	global_load_dwordx2 v[14:15], v26, s[2:3] offset:24 glc
	global_load_dwordx2 v[6:7], v26, s[2:3]
	s_waitcnt vmcnt(2)
	v_readfirstlane_b32 s18, v4
	v_readfirstlane_b32 s19, v5
	s_add_u32 s20, s18, 1
	s_addc_u32 s21, s19, 0
	s_add_u32 s0, s20, s14
	s_addc_u32 s1, s21, s15
	s_cmp_eq_u64 s[0:1], 0
	s_cselect_b32 s1, s21, s1
	s_cselect_b32 s0, s20, s0
	s_and_b64 s[14:15], s[0:1], s[18:19]
	s_mul_i32 s15, s15, 24
	s_mul_hi_u32 s18, s14, 24
	s_mul_i32 s14, s14, 24
	s_add_i32 s15, s18, s15
	v_mov_b32_e32 v4, s15
	s_waitcnt vmcnt(0)
	v_add_co_u32_e32 v10, vcc, s14, v6
	v_addc_co_u32_e32 v11, vcc, v7, v4, vcc
	v_mov_b32_e32 v12, s0
	global_store_dwordx2 v[10:11], v[14:15], off
	v_mov_b32_e32 v13, s1
	s_waitcnt vmcnt(0)
	global_atomic_cmpswap_x2 v[6:7], v26, v[12:15], s[2:3] offset:24 glc
	s_waitcnt vmcnt(0)
	v_cmp_ne_u64_e32 vcc, v[6:7], v[14:15]
	s_and_b64 exec, exec, vcc
	s_cbranch_execz .LBB3_32
; %bb.113:                              ;   in Loop: Header=BB3_33 Depth=1
	s_mov_b64 s[14:15], 0
.LBB3_114:                              ;   Parent Loop BB3_33 Depth=1
                                        ; =>  This Inner Loop Header: Depth=2
	s_sleep 1
	global_store_dwordx2 v[10:11], v[6:7], off
	v_mov_b32_e32 v4, s0
	v_mov_b32_e32 v5, s1
	s_waitcnt vmcnt(0)
	global_atomic_cmpswap_x2 v[4:5], v26, v[4:7], s[2:3] offset:24 glc
	s_waitcnt vmcnt(0)
	v_cmp_eq_u64_e32 vcc, v[4:5], v[6:7]
	v_mov_b32_e32 v7, v5
	s_or_b64 s[14:15], vcc, s[14:15]
	v_mov_b32_e32 v6, v4
	s_andn2_b64 exec, exec, s[14:15]
	s_cbranch_execnz .LBB3_114
	s_branch .LBB3_32
.LBB3_115:
	s_branch .LBB3_143
.LBB3_116:
                                        ; implicit-def: $vgpr2_vgpr3
	s_cbranch_execz .LBB3_143
; %bb.117:
	v_readfirstlane_b32 s0, v30
	v_mov_b32_e32 v8, 0
	v_mov_b32_e32 v9, 0
	v_cmp_eq_u32_e64 s[0:1], s0, v30
	s_and_saveexec_b64 s[4:5], s[0:1]
	s_cbranch_execz .LBB3_123
; %bb.118:
	s_waitcnt vmcnt(0)
	v_mov_b32_e32 v2, 0
	global_load_dwordx2 v[5:6], v2, s[2:3] offset:24 glc
	s_waitcnt vmcnt(0)
	buffer_wbinvl1_vol
	global_load_dwordx2 v[3:4], v2, s[2:3] offset:40
	global_load_dwordx2 v[7:8], v2, s[2:3]
	s_waitcnt vmcnt(1)
	v_and_b32_e32 v3, v3, v5
	v_and_b32_e32 v4, v4, v6
	v_mul_lo_u32 v4, v4, 24
	v_mul_hi_u32 v9, v3, 24
	v_mul_lo_u32 v3, v3, 24
	v_add_u32_e32 v4, v9, v4
	s_waitcnt vmcnt(0)
	v_add_co_u32_e32 v3, vcc, v7, v3
	v_addc_co_u32_e32 v4, vcc, v8, v4, vcc
	global_load_dwordx2 v[3:4], v[3:4], off glc
	s_waitcnt vmcnt(0)
	global_atomic_cmpswap_x2 v[8:9], v2, v[3:6], s[2:3] offset:24 glc
	s_waitcnt vmcnt(0)
	buffer_wbinvl1_vol
	v_cmp_ne_u64_e32 vcc, v[8:9], v[5:6]
	s_and_saveexec_b64 s[10:11], vcc
	s_cbranch_execz .LBB3_122
; %bb.119:
	s_mov_b64 s[12:13], 0
.LBB3_120:                              ; =>This Inner Loop Header: Depth=1
	s_sleep 1
	global_load_dwordx2 v[3:4], v2, s[2:3] offset:40
	global_load_dwordx2 v[10:11], v2, s[2:3]
	v_mov_b32_e32 v5, v8
	v_mov_b32_e32 v6, v9
	s_waitcnt vmcnt(1)
	v_and_b32_e32 v3, v3, v5
	s_waitcnt vmcnt(0)
	v_mad_u64_u32 v[7:8], s[14:15], v3, 24, v[10:11]
	v_and_b32_e32 v4, v4, v6
	v_mov_b32_e32 v3, v8
	v_mad_u64_u32 v[3:4], s[14:15], v4, 24, v[3:4]
	v_mov_b32_e32 v8, v3
	global_load_dwordx2 v[3:4], v[7:8], off glc
	s_waitcnt vmcnt(0)
	global_atomic_cmpswap_x2 v[8:9], v2, v[3:6], s[2:3] offset:24 glc
	s_waitcnt vmcnt(0)
	buffer_wbinvl1_vol
	v_cmp_eq_u64_e32 vcc, v[8:9], v[5:6]
	s_or_b64 s[12:13], vcc, s[12:13]
	s_andn2_b64 exec, exec, s[12:13]
	s_cbranch_execnz .LBB3_120
; %bb.121:
	s_or_b64 exec, exec, s[12:13]
.LBB3_122:
	s_or_b64 exec, exec, s[10:11]
.LBB3_123:
	s_or_b64 exec, exec, s[4:5]
	s_waitcnt vmcnt(0)
	v_mov_b32_e32 v2, 0
	global_load_dwordx2 v[10:11], v2, s[2:3] offset:40
	global_load_dwordx4 v[4:7], v2, s[2:3]
	v_readfirstlane_b32 s5, v9
	v_readfirstlane_b32 s4, v8
	s_mov_b64 s[10:11], exec
	s_waitcnt vmcnt(1)
	v_readfirstlane_b32 s12, v10
	v_readfirstlane_b32 s13, v11
	s_and_b64 s[12:13], s[12:13], s[4:5]
	s_mul_i32 s14, s13, 24
	s_mul_hi_u32 s15, s12, 24
	s_mul_i32 s16, s12, 24
	s_add_i32 s14, s15, s14
	v_mov_b32_e32 v3, s14
	s_waitcnt vmcnt(0)
	v_add_co_u32_e32 v8, vcc, s16, v4
	v_addc_co_u32_e32 v9, vcc, v5, v3, vcc
	s_and_saveexec_b64 s[14:15], s[0:1]
	s_cbranch_execz .LBB3_125
; %bb.124:
	v_mov_b32_e32 v10, s10
	v_mov_b32_e32 v11, s11
	;; [unrolled: 1-line block ×4, first 2 shown]
	global_store_dwordx4 v[8:9], v[10:13], off offset:8
.LBB3_125:
	s_or_b64 exec, exec, s[14:15]
	s_lshl_b64 s[10:11], s[12:13], 12
	v_mov_b32_e32 v3, s11
	v_add_co_u32_e32 v10, vcc, s10, v6
	v_addc_co_u32_e32 v11, vcc, v7, v3, vcc
	s_movk_i32 s10, 0xff1f
	v_and_or_b32 v0, v0, s10, 32
	s_mov_b32 s12, 0
	v_mov_b32_e32 v3, v2
	v_readfirstlane_b32 s10, v10
	v_readfirstlane_b32 s11, v11
	v_add_co_u32_e32 v6, vcc, v10, v29
	s_mov_b32 s13, s12
	s_mov_b32 s14, s12
	;; [unrolled: 1-line block ×3, first 2 shown]
	s_nop 0
	global_store_dwordx4 v29, v[0:3], s[10:11]
	v_addc_co_u32_e32 v7, vcc, 0, v11, vcc
	v_mov_b32_e32 v0, s12
	v_mov_b32_e32 v1, s13
	;; [unrolled: 1-line block ×4, first 2 shown]
	global_store_dwordx4 v29, v[0:3], s[10:11] offset:16
	global_store_dwordx4 v29, v[0:3], s[10:11] offset:32
	;; [unrolled: 1-line block ×3, first 2 shown]
	s_and_saveexec_b64 s[10:11], s[0:1]
	s_cbranch_execz .LBB3_133
; %bb.126:
	v_mov_b32_e32 v10, 0
	global_load_dwordx2 v[13:14], v10, s[2:3] offset:32 glc
	global_load_dwordx2 v[0:1], v10, s[2:3] offset:40
	v_mov_b32_e32 v11, s4
	v_mov_b32_e32 v12, s5
	s_waitcnt vmcnt(0)
	v_readfirstlane_b32 s12, v0
	v_readfirstlane_b32 s13, v1
	s_and_b64 s[12:13], s[12:13], s[4:5]
	s_mul_i32 s13, s13, 24
	s_mul_hi_u32 s14, s12, 24
	s_mul_i32 s12, s12, 24
	s_add_i32 s13, s14, s13
	v_mov_b32_e32 v0, s13
	v_add_co_u32_e32 v4, vcc, s12, v4
	v_addc_co_u32_e32 v5, vcc, v5, v0, vcc
	global_store_dwordx2 v[4:5], v[13:14], off
	s_waitcnt vmcnt(0)
	global_atomic_cmpswap_x2 v[2:3], v10, v[11:14], s[2:3] offset:32 glc
	s_waitcnt vmcnt(0)
	v_cmp_ne_u64_e32 vcc, v[2:3], v[13:14]
	s_and_saveexec_b64 s[12:13], vcc
	s_cbranch_execz .LBB3_129
; %bb.127:
	s_mov_b64 s[14:15], 0
.LBB3_128:                              ; =>This Inner Loop Header: Depth=1
	s_sleep 1
	global_store_dwordx2 v[4:5], v[2:3], off
	v_mov_b32_e32 v0, s4
	v_mov_b32_e32 v1, s5
	s_waitcnt vmcnt(0)
	global_atomic_cmpswap_x2 v[0:1], v10, v[0:3], s[2:3] offset:32 glc
	s_waitcnt vmcnt(0)
	v_cmp_eq_u64_e32 vcc, v[0:1], v[2:3]
	v_mov_b32_e32 v3, v1
	s_or_b64 s[14:15], vcc, s[14:15]
	v_mov_b32_e32 v2, v0
	s_andn2_b64 exec, exec, s[14:15]
	s_cbranch_execnz .LBB3_128
.LBB3_129:
	s_or_b64 exec, exec, s[12:13]
	v_mov_b32_e32 v3, 0
	global_load_dwordx2 v[0:1], v3, s[2:3] offset:16
	s_mov_b64 s[12:13], exec
	v_mbcnt_lo_u32_b32 v2, s12, 0
	v_mbcnt_hi_u32_b32 v2, s13, v2
	v_cmp_eq_u32_e32 vcc, 0, v2
	s_and_saveexec_b64 s[14:15], vcc
	s_cbranch_execz .LBB3_131
; %bb.130:
	s_bcnt1_i32_b64 s12, s[12:13]
	v_mov_b32_e32 v2, s12
	s_waitcnt vmcnt(0)
	global_atomic_add_x2 v[0:1], v[2:3], off offset:8
.LBB3_131:
	s_or_b64 exec, exec, s[14:15]
	s_waitcnt vmcnt(0)
	global_load_dwordx2 v[2:3], v[0:1], off offset:16
	s_waitcnt vmcnt(0)
	v_cmp_eq_u64_e32 vcc, 0, v[2:3]
	s_cbranch_vccnz .LBB3_133
; %bb.132:
	global_load_dword v0, v[0:1], off offset:24
	v_mov_b32_e32 v1, 0
	s_waitcnt vmcnt(0)
	v_readfirstlane_b32 s12, v0
	s_and_b32 m0, s12, 0xffffff
	global_store_dwordx2 v[2:3], v[0:1], off
	s_sendmsg sendmsg(MSG_INTERRUPT)
.LBB3_133:
	s_or_b64 exec, exec, s[10:11]
	s_branch .LBB3_137
.LBB3_134:                              ;   in Loop: Header=BB3_137 Depth=1
	s_or_b64 exec, exec, s[10:11]
	v_readfirstlane_b32 s10, v0
	s_cmp_eq_u32 s10, 0
	s_cbranch_scc1 .LBB3_136
; %bb.135:                              ;   in Loop: Header=BB3_137 Depth=1
	s_sleep 1
	s_cbranch_execnz .LBB3_137
	s_branch .LBB3_139
.LBB3_136:
	s_branch .LBB3_139
.LBB3_137:                              ; =>This Inner Loop Header: Depth=1
	v_mov_b32_e32 v0, 1
	s_and_saveexec_b64 s[10:11], s[0:1]
	s_cbranch_execz .LBB3_134
; %bb.138:                              ;   in Loop: Header=BB3_137 Depth=1
	global_load_dword v0, v[8:9], off offset:20 glc
	s_waitcnt vmcnt(0)
	buffer_wbinvl1_vol
	v_and_b32_e32 v0, 1, v0
	s_branch .LBB3_134
.LBB3_139:
	global_load_dwordx2 v[2:3], v[6:7], off
	s_and_saveexec_b64 s[10:11], s[0:1]
	s_cbranch_execz .LBB3_142
; %bb.140:
	v_mov_b32_e32 v8, 0
	global_load_dwordx2 v[0:1], v8, s[2:3] offset:40
	global_load_dwordx2 v[11:12], v8, s[2:3] offset:24 glc
	global_load_dwordx2 v[4:5], v8, s[2:3]
	s_waitcnt vmcnt(2)
	v_readfirstlane_b32 s12, v0
	v_readfirstlane_b32 s13, v1
	s_add_u32 s14, s12, 1
	s_addc_u32 s15, s13, 0
	s_add_u32 s0, s14, s4
	s_addc_u32 s1, s15, s5
	s_cmp_eq_u64 s[0:1], 0
	s_cselect_b32 s1, s15, s1
	s_cselect_b32 s0, s14, s0
	s_and_b64 s[4:5], s[0:1], s[12:13]
	s_mul_i32 s5, s5, 24
	s_mul_hi_u32 s12, s4, 24
	s_mul_i32 s4, s4, 24
	s_add_i32 s5, s12, s5
	v_mov_b32_e32 v1, s5
	s_waitcnt vmcnt(0)
	v_add_co_u32_e32 v0, vcc, s4, v4
	v_addc_co_u32_e32 v1, vcc, v5, v1, vcc
	v_mov_b32_e32 v9, s0
	global_store_dwordx2 v[0:1], v[11:12], off
	v_mov_b32_e32 v10, s1
	s_waitcnt vmcnt(0)
	global_atomic_cmpswap_x2 v[6:7], v8, v[9:12], s[2:3] offset:24 glc
	s_mov_b64 s[4:5], 0
	s_waitcnt vmcnt(0)
	v_cmp_ne_u64_e32 vcc, v[6:7], v[11:12]
	s_and_b64 exec, exec, vcc
	s_cbranch_execz .LBB3_142
.LBB3_141:                              ; =>This Inner Loop Header: Depth=1
	s_sleep 1
	global_store_dwordx2 v[0:1], v[6:7], off
	v_mov_b32_e32 v4, s0
	v_mov_b32_e32 v5, s1
	s_waitcnt vmcnt(0)
	global_atomic_cmpswap_x2 v[4:5], v8, v[4:7], s[2:3] offset:24 glc
	s_waitcnt vmcnt(0)
	v_cmp_eq_u64_e32 vcc, v[4:5], v[6:7]
	v_mov_b32_e32 v7, v5
	s_or_b64 s[4:5], vcc, s[4:5]
	v_mov_b32_e32 v6, v4
	s_andn2_b64 exec, exec, s[4:5]
	s_cbranch_execnz .LBB3_141
.LBB3_142:
	s_or_b64 exec, exec, s[10:11]
.LBB3_143:
	v_readfirstlane_b32 s0, v30
	s_waitcnt vmcnt(0)
	v_mov_b32_e32 v0, 0
	v_mov_b32_e32 v1, 0
	v_cmp_eq_u32_e64 s[0:1], s0, v30
	s_and_saveexec_b64 s[4:5], s[0:1]
	s_cbranch_execz .LBB3_149
; %bb.144:
	v_mov_b32_e32 v4, 0
	global_load_dwordx2 v[7:8], v4, s[2:3] offset:24 glc
	s_waitcnt vmcnt(0)
	buffer_wbinvl1_vol
	global_load_dwordx2 v[0:1], v4, s[2:3] offset:40
	global_load_dwordx2 v[5:6], v4, s[2:3]
	s_waitcnt vmcnt(1)
	v_and_b32_e32 v0, v0, v7
	v_and_b32_e32 v1, v1, v8
	v_mul_lo_u32 v1, v1, 24
	v_mul_hi_u32 v9, v0, 24
	v_mul_lo_u32 v0, v0, 24
	v_add_u32_e32 v1, v9, v1
	s_waitcnt vmcnt(0)
	v_add_co_u32_e32 v0, vcc, v5, v0
	v_addc_co_u32_e32 v1, vcc, v6, v1, vcc
	global_load_dwordx2 v[5:6], v[0:1], off glc
	s_waitcnt vmcnt(0)
	global_atomic_cmpswap_x2 v[0:1], v4, v[5:8], s[2:3] offset:24 glc
	s_waitcnt vmcnt(0)
	buffer_wbinvl1_vol
	v_cmp_ne_u64_e32 vcc, v[0:1], v[7:8]
	s_and_saveexec_b64 s[10:11], vcc
	s_cbranch_execz .LBB3_148
; %bb.145:
	s_mov_b64 s[12:13], 0
.LBB3_146:                              ; =>This Inner Loop Header: Depth=1
	s_sleep 1
	global_load_dwordx2 v[5:6], v4, s[2:3] offset:40
	global_load_dwordx2 v[9:10], v4, s[2:3]
	v_mov_b32_e32 v8, v1
	v_mov_b32_e32 v7, v0
	s_waitcnt vmcnt(1)
	v_and_b32_e32 v0, v5, v7
	s_waitcnt vmcnt(0)
	v_mad_u64_u32 v[0:1], s[14:15], v0, 24, v[9:10]
	v_and_b32_e32 v5, v6, v8
	v_mad_u64_u32 v[5:6], s[14:15], v5, 24, v[1:2]
	v_mov_b32_e32 v1, v5
	global_load_dwordx2 v[5:6], v[0:1], off glc
	s_waitcnt vmcnt(0)
	global_atomic_cmpswap_x2 v[0:1], v4, v[5:8], s[2:3] offset:24 glc
	s_waitcnt vmcnt(0)
	buffer_wbinvl1_vol
	v_cmp_eq_u64_e32 vcc, v[0:1], v[7:8]
	s_or_b64 s[12:13], vcc, s[12:13]
	s_andn2_b64 exec, exec, s[12:13]
	s_cbranch_execnz .LBB3_146
; %bb.147:
	s_or_b64 exec, exec, s[12:13]
.LBB3_148:
	s_or_b64 exec, exec, s[10:11]
.LBB3_149:
	s_or_b64 exec, exec, s[4:5]
	v_mov_b32_e32 v10, 0
	global_load_dwordx2 v[4:5], v10, s[2:3] offset:40
	global_load_dwordx4 v[6:9], v10, s[2:3]
	v_readfirstlane_b32 s5, v1
	v_readfirstlane_b32 s4, v0
	s_mov_b64 s[10:11], exec
	s_waitcnt vmcnt(1)
	v_readfirstlane_b32 s12, v4
	v_readfirstlane_b32 s13, v5
	s_and_b64 s[12:13], s[12:13], s[4:5]
	s_mul_i32 s14, s13, 24
	s_mul_hi_u32 s15, s12, 24
	s_mul_i32 s16, s12, 24
	s_add_i32 s14, s15, s14
	v_mov_b32_e32 v0, s14
	s_waitcnt vmcnt(0)
	v_add_co_u32_e32 v10, vcc, s16, v6
	v_addc_co_u32_e32 v11, vcc, v7, v0, vcc
	s_and_saveexec_b64 s[14:15], s[0:1]
	s_cbranch_execz .LBB3_151
; %bb.150:
	v_mov_b32_e32 v13, s11
	v_mov_b32_e32 v12, s10
	;; [unrolled: 1-line block ×4, first 2 shown]
	global_store_dwordx4 v[10:11], v[12:15], off offset:8
.LBB3_151:
	s_or_b64 exec, exec, s[14:15]
	s_lshl_b64 s[10:11], s[12:13], 12
	v_mov_b32_e32 v0, s11
	v_add_co_u32_e32 v1, vcc, s10, v8
	v_addc_co_u32_e32 v0, vcc, v9, v0, vcc
	s_movk_i32 s10, 0xff1f
	v_and_or_b32 v2, v2, s10, 32
	v_add_co_u32_e32 v8, vcc, v1, v29
	v_mov_b32_e32 v4, s8
	v_mov_b32_e32 v5, s9
	v_readfirstlane_b32 s12, v1
	v_readfirstlane_b32 s13, v0
	s_mov_b32 s8, 0
	v_addc_co_u32_e32 v9, vcc, 0, v0, vcc
	s_mov_b32 s9, s8
	s_mov_b32 s10, s8
	s_nop 0
	global_store_dwordx4 v29, v[2:5], s[12:13]
	s_mov_b32 s11, s8
	v_mov_b32_e32 v0, s8
	v_mov_b32_e32 v1, s9
	;; [unrolled: 1-line block ×4, first 2 shown]
	global_store_dwordx4 v29, v[0:3], s[12:13] offset:16
	global_store_dwordx4 v29, v[0:3], s[12:13] offset:32
	;; [unrolled: 1-line block ×3, first 2 shown]
	s_and_saveexec_b64 s[8:9], s[0:1]
	s_cbranch_execz .LBB3_159
; %bb.152:
	v_mov_b32_e32 v12, 0
	global_load_dwordx2 v[15:16], v12, s[2:3] offset:32 glc
	global_load_dwordx2 v[0:1], v12, s[2:3] offset:40
	v_mov_b32_e32 v13, s4
	v_mov_b32_e32 v14, s5
	s_waitcnt vmcnt(0)
	v_readfirstlane_b32 s10, v0
	v_readfirstlane_b32 s11, v1
	s_and_b64 s[10:11], s[10:11], s[4:5]
	s_mul_i32 s11, s11, 24
	s_mul_hi_u32 s12, s10, 24
	s_mul_i32 s10, s10, 24
	s_add_i32 s11, s12, s11
	v_mov_b32_e32 v0, s11
	v_add_co_u32_e32 v4, vcc, s10, v6
	v_addc_co_u32_e32 v5, vcc, v7, v0, vcc
	global_store_dwordx2 v[4:5], v[15:16], off
	s_waitcnt vmcnt(0)
	global_atomic_cmpswap_x2 v[2:3], v12, v[13:16], s[2:3] offset:32 glc
	s_waitcnt vmcnt(0)
	v_cmp_ne_u64_e32 vcc, v[2:3], v[15:16]
	s_and_saveexec_b64 s[10:11], vcc
	s_cbranch_execz .LBB3_155
; %bb.153:
	s_mov_b64 s[12:13], 0
.LBB3_154:                              ; =>This Inner Loop Header: Depth=1
	s_sleep 1
	global_store_dwordx2 v[4:5], v[2:3], off
	v_mov_b32_e32 v0, s4
	v_mov_b32_e32 v1, s5
	s_waitcnt vmcnt(0)
	global_atomic_cmpswap_x2 v[0:1], v12, v[0:3], s[2:3] offset:32 glc
	s_waitcnt vmcnt(0)
	v_cmp_eq_u64_e32 vcc, v[0:1], v[2:3]
	v_mov_b32_e32 v3, v1
	s_or_b64 s[12:13], vcc, s[12:13]
	v_mov_b32_e32 v2, v0
	s_andn2_b64 exec, exec, s[12:13]
	s_cbranch_execnz .LBB3_154
.LBB3_155:
	s_or_b64 exec, exec, s[10:11]
	v_mov_b32_e32 v3, 0
	global_load_dwordx2 v[0:1], v3, s[2:3] offset:16
	s_mov_b64 s[10:11], exec
	v_mbcnt_lo_u32_b32 v2, s10, 0
	v_mbcnt_hi_u32_b32 v2, s11, v2
	v_cmp_eq_u32_e32 vcc, 0, v2
	s_and_saveexec_b64 s[12:13], vcc
	s_cbranch_execz .LBB3_157
; %bb.156:
	s_bcnt1_i32_b64 s10, s[10:11]
	v_mov_b32_e32 v2, s10
	s_waitcnt vmcnt(0)
	global_atomic_add_x2 v[0:1], v[2:3], off offset:8
.LBB3_157:
	s_or_b64 exec, exec, s[12:13]
	s_waitcnt vmcnt(0)
	global_load_dwordx2 v[2:3], v[0:1], off offset:16
	s_waitcnt vmcnt(0)
	v_cmp_eq_u64_e32 vcc, 0, v[2:3]
	s_cbranch_vccnz .LBB3_159
; %bb.158:
	global_load_dword v0, v[0:1], off offset:24
	v_mov_b32_e32 v1, 0
	s_waitcnt vmcnt(0)
	v_readfirstlane_b32 s10, v0
	s_and_b32 m0, s10, 0xffffff
	global_store_dwordx2 v[2:3], v[0:1], off
	s_sendmsg sendmsg(MSG_INTERRUPT)
.LBB3_159:
	s_or_b64 exec, exec, s[8:9]
	s_branch .LBB3_163
.LBB3_160:                              ;   in Loop: Header=BB3_163 Depth=1
	s_or_b64 exec, exec, s[8:9]
	v_readfirstlane_b32 s8, v0
	s_cmp_eq_u32 s8, 0
	s_cbranch_scc1 .LBB3_162
; %bb.161:                              ;   in Loop: Header=BB3_163 Depth=1
	s_sleep 1
	s_cbranch_execnz .LBB3_163
	s_branch .LBB3_165
.LBB3_162:
	s_branch .LBB3_165
.LBB3_163:                              ; =>This Inner Loop Header: Depth=1
	v_mov_b32_e32 v0, 1
	s_and_saveexec_b64 s[8:9], s[0:1]
	s_cbranch_execz .LBB3_160
; %bb.164:                              ;   in Loop: Header=BB3_163 Depth=1
	global_load_dword v0, v[10:11], off offset:20 glc
	s_waitcnt vmcnt(0)
	buffer_wbinvl1_vol
	v_and_b32_e32 v0, 1, v0
	s_branch .LBB3_160
.LBB3_165:
	global_load_dwordx2 v[0:1], v[8:9], off
	s_and_saveexec_b64 s[8:9], s[0:1]
	s_cbranch_execz .LBB3_168
; %bb.166:
	v_mov_b32_e32 v8, 0
	global_load_dwordx2 v[2:3], v8, s[2:3] offset:40
	global_load_dwordx2 v[11:12], v8, s[2:3] offset:24 glc
	global_load_dwordx2 v[4:5], v8, s[2:3]
	s_waitcnt vmcnt(2)
	v_readfirstlane_b32 s10, v2
	v_readfirstlane_b32 s11, v3
	s_add_u32 s12, s10, 1
	s_addc_u32 s13, s11, 0
	s_add_u32 s0, s12, s4
	s_addc_u32 s1, s13, s5
	s_cmp_eq_u64 s[0:1], 0
	s_cselect_b32 s1, s13, s1
	s_cselect_b32 s0, s12, s0
	s_and_b64 s[4:5], s[0:1], s[10:11]
	s_mul_i32 s5, s5, 24
	s_mul_hi_u32 s10, s4, 24
	s_mul_i32 s4, s4, 24
	s_add_i32 s5, s10, s5
	v_mov_b32_e32 v2, s5
	s_waitcnt vmcnt(0)
	v_add_co_u32_e32 v6, vcc, s4, v4
	v_addc_co_u32_e32 v7, vcc, v5, v2, vcc
	v_mov_b32_e32 v9, s0
	global_store_dwordx2 v[6:7], v[11:12], off
	v_mov_b32_e32 v10, s1
	s_waitcnt vmcnt(0)
	global_atomic_cmpswap_x2 v[4:5], v8, v[9:12], s[2:3] offset:24 glc
	s_mov_b64 s[4:5], 0
	s_waitcnt vmcnt(0)
	v_cmp_ne_u64_e32 vcc, v[4:5], v[11:12]
	s_and_b64 exec, exec, vcc
	s_cbranch_execz .LBB3_168
.LBB3_167:                              ; =>This Inner Loop Header: Depth=1
	s_sleep 1
	global_store_dwordx2 v[6:7], v[4:5], off
	v_mov_b32_e32 v2, s0
	v_mov_b32_e32 v3, s1
	s_waitcnt vmcnt(0)
	global_atomic_cmpswap_x2 v[2:3], v8, v[2:5], s[2:3] offset:24 glc
	s_waitcnt vmcnt(0)
	v_cmp_eq_u64_e32 vcc, v[2:3], v[4:5]
	v_mov_b32_e32 v5, v3
	s_or_b64 s[4:5], vcc, s[4:5]
	v_mov_b32_e32 v4, v2
	s_andn2_b64 exec, exec, s[4:5]
	s_cbranch_execnz .LBB3_167
.LBB3_168:
	s_or_b64 exec, exec, s[8:9]
	v_readfirstlane_b32 s0, v30
	v_mov_b32_e32 v2, 0
	v_mov_b32_e32 v3, 0
	v_cmp_eq_u32_e64 s[0:1], s0, v30
	s_and_saveexec_b64 s[4:5], s[0:1]
	s_cbranch_execz .LBB3_174
; %bb.169:
	v_mov_b32_e32 v4, 0
	global_load_dwordx2 v[7:8], v4, s[2:3] offset:24 glc
	s_waitcnt vmcnt(0)
	buffer_wbinvl1_vol
	global_load_dwordx2 v[2:3], v4, s[2:3] offset:40
	global_load_dwordx2 v[5:6], v4, s[2:3]
	s_waitcnt vmcnt(1)
	v_and_b32_e32 v2, v2, v7
	v_and_b32_e32 v3, v3, v8
	v_mul_lo_u32 v3, v3, 24
	v_mul_hi_u32 v9, v2, 24
	v_mul_lo_u32 v2, v2, 24
	v_add_u32_e32 v3, v9, v3
	s_waitcnt vmcnt(0)
	v_add_co_u32_e32 v2, vcc, v5, v2
	v_addc_co_u32_e32 v3, vcc, v6, v3, vcc
	global_load_dwordx2 v[5:6], v[2:3], off glc
	s_waitcnt vmcnt(0)
	global_atomic_cmpswap_x2 v[2:3], v4, v[5:8], s[2:3] offset:24 glc
	s_waitcnt vmcnt(0)
	buffer_wbinvl1_vol
	v_cmp_ne_u64_e32 vcc, v[2:3], v[7:8]
	s_and_saveexec_b64 s[8:9], vcc
	s_cbranch_execz .LBB3_173
; %bb.170:
	s_mov_b64 s[10:11], 0
.LBB3_171:                              ; =>This Inner Loop Header: Depth=1
	s_sleep 1
	global_load_dwordx2 v[5:6], v4, s[2:3] offset:40
	global_load_dwordx2 v[9:10], v4, s[2:3]
	v_mov_b32_e32 v8, v3
	v_mov_b32_e32 v7, v2
	s_waitcnt vmcnt(1)
	v_and_b32_e32 v2, v5, v7
	s_waitcnt vmcnt(0)
	v_mad_u64_u32 v[2:3], s[12:13], v2, 24, v[9:10]
	v_and_b32_e32 v5, v6, v8
	v_mad_u64_u32 v[5:6], s[12:13], v5, 24, v[3:4]
	v_mov_b32_e32 v3, v5
	global_load_dwordx2 v[5:6], v[2:3], off glc
	s_waitcnt vmcnt(0)
	global_atomic_cmpswap_x2 v[2:3], v4, v[5:8], s[2:3] offset:24 glc
	s_waitcnt vmcnt(0)
	buffer_wbinvl1_vol
	v_cmp_eq_u64_e32 vcc, v[2:3], v[7:8]
	s_or_b64 s[10:11], vcc, s[10:11]
	s_andn2_b64 exec, exec, s[10:11]
	s_cbranch_execnz .LBB3_171
; %bb.172:
	s_or_b64 exec, exec, s[10:11]
.LBB3_173:
	s_or_b64 exec, exec, s[8:9]
.LBB3_174:
	s_or_b64 exec, exec, s[4:5]
	v_mov_b32_e32 v10, 0
	global_load_dwordx2 v[8:9], v10, s[2:3] offset:40
	global_load_dwordx4 v[4:7], v10, s[2:3]
	v_readfirstlane_b32 s5, v3
	v_readfirstlane_b32 s4, v2
	s_mov_b64 s[8:9], exec
	s_waitcnt vmcnt(1)
	v_readfirstlane_b32 s10, v8
	v_readfirstlane_b32 s11, v9
	s_and_b64 s[10:11], s[10:11], s[4:5]
	s_mul_i32 s12, s11, 24
	s_mul_hi_u32 s13, s10, 24
	s_mul_i32 s14, s10, 24
	s_add_i32 s12, s13, s12
	v_mov_b32_e32 v2, s12
	s_waitcnt vmcnt(0)
	v_add_co_u32_e32 v8, vcc, s14, v4
	v_addc_co_u32_e32 v9, vcc, v5, v2, vcc
	s_and_saveexec_b64 s[12:13], s[0:1]
	s_cbranch_execz .LBB3_176
; %bb.175:
	v_mov_b32_e32 v11, s9
	v_mov_b32_e32 v10, s8
	;; [unrolled: 1-line block ×4, first 2 shown]
	global_store_dwordx4 v[8:9], v[10:13], off offset:8
.LBB3_176:
	s_or_b64 exec, exec, s[12:13]
	s_lshl_b64 s[8:9], s[10:11], 12
	v_mov_b32_e32 v2, s9
	v_add_co_u32_e32 v6, vcc, s8, v6
	v_addc_co_u32_e32 v7, vcc, v7, v2, vcc
	s_movk_i32 s8, 0xff1d
	v_and_or_b32 v0, v0, s8, 34
	v_mov_b32_e32 v2, s6
	v_mov_b32_e32 v3, s7
	v_readfirstlane_b32 s6, v6
	v_readfirstlane_b32 s7, v7
	s_mov_b32 s8, 0
	s_mov_b32 s9, s8
	;; [unrolled: 1-line block ×4, first 2 shown]
	s_nop 0
	global_store_dwordx4 v29, v[0:3], s[6:7]
	s_nop 0
	v_mov_b32_e32 v0, s8
	v_mov_b32_e32 v1, s9
	;; [unrolled: 1-line block ×4, first 2 shown]
	global_store_dwordx4 v29, v[0:3], s[6:7] offset:16
	global_store_dwordx4 v29, v[0:3], s[6:7] offset:32
	;; [unrolled: 1-line block ×3, first 2 shown]
	s_and_saveexec_b64 s[6:7], s[0:1]
	s_cbranch_execz .LBB3_184
; %bb.177:
	v_mov_b32_e32 v6, 0
	global_load_dwordx2 v[12:13], v6, s[2:3] offset:32 glc
	global_load_dwordx2 v[0:1], v6, s[2:3] offset:40
	v_mov_b32_e32 v10, s4
	v_mov_b32_e32 v11, s5
	s_waitcnt vmcnt(0)
	v_readfirstlane_b32 s8, v0
	v_readfirstlane_b32 s9, v1
	s_and_b64 s[8:9], s[8:9], s[4:5]
	s_mul_i32 s9, s9, 24
	s_mul_hi_u32 s10, s8, 24
	s_mul_i32 s8, s8, 24
	s_add_i32 s9, s10, s9
	v_mov_b32_e32 v0, s9
	v_add_co_u32_e32 v4, vcc, s8, v4
	v_addc_co_u32_e32 v5, vcc, v5, v0, vcc
	global_store_dwordx2 v[4:5], v[12:13], off
	s_waitcnt vmcnt(0)
	global_atomic_cmpswap_x2 v[2:3], v6, v[10:13], s[2:3] offset:32 glc
	s_waitcnt vmcnt(0)
	v_cmp_ne_u64_e32 vcc, v[2:3], v[12:13]
	s_and_saveexec_b64 s[8:9], vcc
	s_cbranch_execz .LBB3_180
; %bb.178:
	s_mov_b64 s[10:11], 0
.LBB3_179:                              ; =>This Inner Loop Header: Depth=1
	s_sleep 1
	global_store_dwordx2 v[4:5], v[2:3], off
	v_mov_b32_e32 v0, s4
	v_mov_b32_e32 v1, s5
	s_waitcnt vmcnt(0)
	global_atomic_cmpswap_x2 v[0:1], v6, v[0:3], s[2:3] offset:32 glc
	s_waitcnt vmcnt(0)
	v_cmp_eq_u64_e32 vcc, v[0:1], v[2:3]
	v_mov_b32_e32 v3, v1
	s_or_b64 s[10:11], vcc, s[10:11]
	v_mov_b32_e32 v2, v0
	s_andn2_b64 exec, exec, s[10:11]
	s_cbranch_execnz .LBB3_179
.LBB3_180:
	s_or_b64 exec, exec, s[8:9]
	v_mov_b32_e32 v3, 0
	global_load_dwordx2 v[0:1], v3, s[2:3] offset:16
	s_mov_b64 s[8:9], exec
	v_mbcnt_lo_u32_b32 v2, s8, 0
	v_mbcnt_hi_u32_b32 v2, s9, v2
	v_cmp_eq_u32_e32 vcc, 0, v2
	s_and_saveexec_b64 s[10:11], vcc
	s_cbranch_execz .LBB3_182
; %bb.181:
	s_bcnt1_i32_b64 s8, s[8:9]
	v_mov_b32_e32 v2, s8
	s_waitcnt vmcnt(0)
	global_atomic_add_x2 v[0:1], v[2:3], off offset:8
.LBB3_182:
	s_or_b64 exec, exec, s[10:11]
	s_waitcnt vmcnt(0)
	global_load_dwordx2 v[2:3], v[0:1], off offset:16
	s_waitcnt vmcnt(0)
	v_cmp_eq_u64_e32 vcc, 0, v[2:3]
	s_cbranch_vccnz .LBB3_184
; %bb.183:
	global_load_dword v0, v[0:1], off offset:24
	v_mov_b32_e32 v1, 0
	s_waitcnt vmcnt(0)
	v_readfirstlane_b32 s8, v0
	s_and_b32 m0, s8, 0xffffff
	global_store_dwordx2 v[2:3], v[0:1], off
	s_sendmsg sendmsg(MSG_INTERRUPT)
.LBB3_184:
	s_or_b64 exec, exec, s[6:7]
	s_branch .LBB3_188
.LBB3_185:                              ;   in Loop: Header=BB3_188 Depth=1
	s_or_b64 exec, exec, s[6:7]
	v_readfirstlane_b32 s6, v0
	s_cmp_eq_u32 s6, 0
	s_cbranch_scc1 .LBB3_187
; %bb.186:                              ;   in Loop: Header=BB3_188 Depth=1
	s_sleep 1
	s_cbranch_execnz .LBB3_188
	s_branch .LBB3_190
.LBB3_187:
	s_branch .LBB3_190
.LBB3_188:                              ; =>This Inner Loop Header: Depth=1
	v_mov_b32_e32 v0, 1
	s_and_saveexec_b64 s[6:7], s[0:1]
	s_cbranch_execz .LBB3_185
; %bb.189:                              ;   in Loop: Header=BB3_188 Depth=1
	global_load_dword v0, v[8:9], off offset:20 glc
	s_waitcnt vmcnt(0)
	buffer_wbinvl1_vol
	v_and_b32_e32 v0, 1, v0
	s_branch .LBB3_185
.LBB3_190:
	s_and_saveexec_b64 s[6:7], s[0:1]
	s_cbranch_execz .LBB3_193
; %bb.191:
	v_mov_b32_e32 v6, 0
	global_load_dwordx2 v[0:1], v6, s[2:3] offset:40
	global_load_dwordx2 v[9:10], v6, s[2:3] offset:24 glc
	global_load_dwordx2 v[2:3], v6, s[2:3]
	s_waitcnt vmcnt(2)
	v_readfirstlane_b32 s6, v0
	v_readfirstlane_b32 s7, v1
	s_add_u32 s8, s6, 1
	s_addc_u32 s9, s7, 0
	s_add_u32 s0, s8, s4
	s_addc_u32 s1, s9, s5
	s_cmp_eq_u64 s[0:1], 0
	s_cselect_b32 s1, s9, s1
	s_cselect_b32 s0, s8, s0
	s_and_b64 s[4:5], s[0:1], s[6:7]
	s_mul_i32 s5, s5, 24
	s_mul_hi_u32 s6, s4, 24
	s_mul_i32 s4, s4, 24
	s_add_i32 s5, s6, s5
	v_mov_b32_e32 v0, s5
	s_waitcnt vmcnt(0)
	v_add_co_u32_e32 v4, vcc, s4, v2
	v_addc_co_u32_e32 v5, vcc, v3, v0, vcc
	v_mov_b32_e32 v7, s0
	global_store_dwordx2 v[4:5], v[9:10], off
	v_mov_b32_e32 v8, s1
	s_waitcnt vmcnt(0)
	global_atomic_cmpswap_x2 v[2:3], v6, v[7:10], s[2:3] offset:24 glc
	s_mov_b64 s[4:5], 0
	s_waitcnt vmcnt(0)
	v_cmp_ne_u64_e32 vcc, v[2:3], v[9:10]
	s_and_b64 exec, exec, vcc
	s_cbranch_execz .LBB3_193
.LBB3_192:                              ; =>This Inner Loop Header: Depth=1
	s_sleep 1
	global_store_dwordx2 v[4:5], v[2:3], off
	v_mov_b32_e32 v0, s0
	v_mov_b32_e32 v1, s1
	s_waitcnt vmcnt(0)
	global_atomic_cmpswap_x2 v[0:1], v6, v[0:3], s[2:3] offset:24 glc
	s_waitcnt vmcnt(0)
	v_cmp_eq_u64_e32 vcc, v[0:1], v[2:3]
	v_mov_b32_e32 v3, v1
	s_or_b64 s[4:5], vcc, s[4:5]
	v_mov_b32_e32 v2, v0
	s_andn2_b64 exec, exec, s[4:5]
	s_cbranch_execnz .LBB3_192
.LBB3_193:
	s_endpgm
	.section	.rodata,"a",@progbits
	.p2align	6, 0x0
	.amdhsa_kernel _Z9printMffcPiS_S_PKiS1_iii
		.amdhsa_group_segment_fixed_size 0
		.amdhsa_private_segment_fixed_size 0
		.amdhsa_kernarg_size 312
		.amdhsa_user_sgpr_count 6
		.amdhsa_user_sgpr_private_segment_buffer 1
		.amdhsa_user_sgpr_dispatch_ptr 0
		.amdhsa_user_sgpr_queue_ptr 0
		.amdhsa_user_sgpr_kernarg_segment_ptr 1
		.amdhsa_user_sgpr_dispatch_id 0
		.amdhsa_user_sgpr_flat_scratch_init 0
		.amdhsa_user_sgpr_private_segment_size 0
		.amdhsa_uses_dynamic_stack 0
		.amdhsa_system_sgpr_private_segment_wavefront_offset 0
		.amdhsa_system_sgpr_workgroup_id_x 1
		.amdhsa_system_sgpr_workgroup_id_y 0
		.amdhsa_system_sgpr_workgroup_id_z 0
		.amdhsa_system_sgpr_workgroup_info 0
		.amdhsa_system_vgpr_workitem_id 0
		.amdhsa_next_free_vgpr 33
		.amdhsa_next_free_sgpr 23
		.amdhsa_reserve_vcc 1
		.amdhsa_reserve_flat_scratch 0
		.amdhsa_float_round_mode_32 0
		.amdhsa_float_round_mode_16_64 0
		.amdhsa_float_denorm_mode_32 3
		.amdhsa_float_denorm_mode_16_64 3
		.amdhsa_dx10_clamp 1
		.amdhsa_ieee_mode 1
		.amdhsa_fp16_overflow 0
		.amdhsa_exception_fp_ieee_invalid_op 0
		.amdhsa_exception_fp_denorm_src 0
		.amdhsa_exception_fp_ieee_div_zero 0
		.amdhsa_exception_fp_ieee_overflow 0
		.amdhsa_exception_fp_ieee_underflow 0
		.amdhsa_exception_fp_ieee_inexact 0
		.amdhsa_exception_int_div_zero 0
	.end_amdhsa_kernel
	.text
.Lfunc_end3:
	.size	_Z9printMffcPiS_S_PKiS1_iii, .Lfunc_end3-_Z9printMffcPiS_S_PKiS1_iii
                                        ; -- End function
	.set _Z9printMffcPiS_S_PKiS1_iii.num_vgpr, 33
	.set _Z9printMffcPiS_S_PKiS1_iii.num_agpr, 0
	.set _Z9printMffcPiS_S_PKiS1_iii.numbered_sgpr, 23
	.set _Z9printMffcPiS_S_PKiS1_iii.num_named_barrier, 0
	.set _Z9printMffcPiS_S_PKiS1_iii.private_seg_size, 0
	.set _Z9printMffcPiS_S_PKiS1_iii.uses_vcc, 1
	.set _Z9printMffcPiS_S_PKiS1_iii.uses_flat_scratch, 0
	.set _Z9printMffcPiS_S_PKiS1_iii.has_dyn_sized_stack, 0
	.set _Z9printMffcPiS_S_PKiS1_iii.has_recursion, 0
	.set _Z9printMffcPiS_S_PKiS1_iii.has_indirect_call, 0
	.section	.AMDGPU.csdata,"",@progbits
; Kernel info:
; codeLenInByte = 7108
; TotalNumSgprs: 27
; NumVgprs: 33
; ScratchSize: 0
; MemoryBound: 0
; FloatMode: 240
; IeeeMode: 1
; LDSByteSize: 0 bytes/workgroup (compile time only)
; SGPRBlocks: 3
; VGPRBlocks: 8
; NumSGPRsForWavesPerEU: 27
; NumVGPRsForWavesPerEU: 33
; Occupancy: 7
; WaveLimiterHint : 1
; COMPUTE_PGM_RSRC2:SCRATCH_EN: 0
; COMPUTE_PGM_RSRC2:USER_SGPR: 6
; COMPUTE_PGM_RSRC2:TRAP_HANDLER: 0
; COMPUTE_PGM_RSRC2:TGID_X_EN: 1
; COMPUTE_PGM_RSRC2:TGID_Y_EN: 0
; COMPUTE_PGM_RSRC2:TGID_Z_EN: 0
; COMPUTE_PGM_RSRC2:TIDIG_COMP_CNT: 0
	.section	.AMDGPU.gpr_maximums,"",@progbits
	.set amdgpu.max_num_vgpr, 37
	.set amdgpu.max_num_agpr, 0
	.set amdgpu.max_num_sgpr, 32
	.section	.AMDGPU.csdata,"",@progbits
	.type	.str,@object                    ; @.str
	.section	.rodata.str1.1,"aMS",@progbits,1
.str:
	.asciz	"id\tfanin0\tfanin1\n"
	.size	.str, 18

	.type	.str.1,@object                  ; @.str.1
.str.1:
	.asciz	"%d\t"
	.size	.str.1, 4

	.type	.str.2,@object                  ; @.str.2
.str.2:
	.asciz	"%s%d\t"
	.size	.str.2, 6

	.type	.str.3,@object                  ; @.str.3
.str.3:
	.asciz	"!"
	.size	.str.3, 2

	.type	.str.4,@object                  ; @.str.4
.str.4:
	.zero	1
	.size	.str.4, 1

	.type	.str.5,@object                  ; @.str.5
.str.5:
	.asciz	"%s%d\n"
	.size	.str.5, 6

	.type	.str.6,@object                  ; @.str.6
.str.6:
	.asciz	"-------AIG-------\n"
	.size	.str.6, 19

	.type	.str.7,@object                  ; @.str.7
.str.7:
	.asciz	"%d\n"
	.size	.str.7, 4

	.type	.str.8,@object                  ; @.str.8
.str.8:
	.asciz	"---POs---\n"
	.size	.str.8, 11

	.type	.str.9,@object                  ; @.str.9
.str.9:
	.asciz	"#nodes = %d\n"
	.size	.str.9, 13

	.type	.str.10,@object                 ; @.str.10
.str.10:
	.asciz	"-----------------\n"
	.size	.str.10, 19

	.type	.str.11,@object                 ; @.str.11
.str.11:
	.asciz	"Too small cone: %d, too large cut: %d\n"
	.size	.str.11, 39

	.type	__hip_cuid_8cd2c314165dff43,@object ; @__hip_cuid_8cd2c314165dff43
	.section	.bss,"aw",@nobits
	.globl	__hip_cuid_8cd2c314165dff43
__hip_cuid_8cd2c314165dff43:
	.byte	0                               ; 0x0
	.size	__hip_cuid_8cd2c314165dff43, 1

	.ident	"AMD clang version 22.0.0git (https://github.com/RadeonOpenCompute/llvm-project roc-7.2.4 26084 f58b06dce1f9c15707c5f808fd002e18c2accf7e)"
	.section	".note.GNU-stack","",@progbits
	.addrsig
	.addrsig_sym __hip_cuid_8cd2c314165dff43
	.amdgpu_metadata
---
amdhsa.kernels:
  - .args:
      - .address_space:  global
        .offset:         0
        .size:           8
        .value_kind:     global_buffer
      - .address_space:  global
        .offset:         8
        .size:           8
        .value_kind:     global_buffer
      - .address_space:  global
        .offset:         16
        .size:           8
        .value_kind:     global_buffer
      - .offset:         24
        .size:           4
        .value_kind:     by_value
      - .offset:         28
        .size:           4
        .value_kind:     by_value
      - .offset:         32
        .size:           4
        .value_kind:     by_value
      - .offset:         40
        .size:           4
        .value_kind:     hidden_block_count_x
      - .offset:         44
        .size:           4
        .value_kind:     hidden_block_count_y
      - .offset:         48
        .size:           4
        .value_kind:     hidden_block_count_z
      - .offset:         52
        .size:           2
        .value_kind:     hidden_group_size_x
      - .offset:         54
        .size:           2
        .value_kind:     hidden_group_size_y
      - .offset:         56
        .size:           2
        .value_kind:     hidden_group_size_z
      - .offset:         58
        .size:           2
        .value_kind:     hidden_remainder_x
      - .offset:         60
        .size:           2
        .value_kind:     hidden_remainder_y
      - .offset:         62
        .size:           2
        .value_kind:     hidden_remainder_z
      - .offset:         80
        .size:           8
        .value_kind:     hidden_global_offset_x
      - .offset:         88
        .size:           8
        .value_kind:     hidden_global_offset_y
      - .offset:         96
        .size:           8
        .value_kind:     hidden_global_offset_z
      - .offset:         104
        .size:           2
        .value_kind:     hidden_grid_dims
      - .offset:         120
        .size:           8
        .value_kind:     hidden_hostcall_buffer
    .group_segment_fixed_size: 0
    .kernarg_segment_align: 8
    .kernarg_segment_size: 296
    .language:       OpenCL C
    .language_version:
      - 2
      - 0
    .max_flat_workgroup_size: 1024
    .name:           _Z9printAIGAPKiS0_S0_iii
    .private_segment_fixed_size: 0
    .sgpr_count:     47
    .sgpr_spill_count: 0
    .symbol:         _Z9printAIGAPKiS0_S0_iii.kd
    .uniform_work_group_size: 1
    .uses_dynamic_stack: false
    .vgpr_count:     33
    .vgpr_spill_count: 0
    .wavefront_size: 64
  - .args:
      - .address_space:  global
        .offset:         0
        .size:           8
        .value_kind:     global_buffer
      - .address_space:  global
        .offset:         8
        .size:           8
        .value_kind:     global_buffer
      - .address_space:  global
        .offset:         16
        .size:           8
        .value_kind:     global_buffer
      - .offset:         24
        .size:           4
        .value_kind:     by_value
      - .offset:         28
        .size:           4
        .value_kind:     by_value
      - .offset:         32
        .size:           4
        .value_kind:     by_value
      - .offset:         40
        .size:           4
        .value_kind:     hidden_block_count_x
      - .offset:         44
        .size:           4
        .value_kind:     hidden_block_count_y
      - .offset:         48
        .size:           4
        .value_kind:     hidden_block_count_z
      - .offset:         52
        .size:           2
        .value_kind:     hidden_group_size_x
      - .offset:         54
        .size:           2
        .value_kind:     hidden_group_size_y
      - .offset:         56
        .size:           2
        .value_kind:     hidden_group_size_z
      - .offset:         58
        .size:           2
        .value_kind:     hidden_remainder_x
      - .offset:         60
        .size:           2
        .value_kind:     hidden_remainder_y
      - .offset:         62
        .size:           2
        .value_kind:     hidden_remainder_z
      - .offset:         80
        .size:           8
        .value_kind:     hidden_global_offset_x
      - .offset:         88
        .size:           8
        .value_kind:     hidden_global_offset_y
      - .offset:         96
        .size:           8
        .value_kind:     hidden_global_offset_z
      - .offset:         104
        .size:           2
        .value_kind:     hidden_grid_dims
      - .offset:         120
        .size:           8
        .value_kind:     hidden_hostcall_buffer
    .group_segment_fixed_size: 0
    .kernarg_segment_align: 8
    .kernarg_segment_size: 296
    .language:       OpenCL C
    .language_version:
      - 2
      - 0
    .max_flat_workgroup_size: 1024
    .name:           _Z8printAIGPKiS0_S0_iii
    .private_segment_fixed_size: 0
    .sgpr_count:     54
    .sgpr_spill_count: 0
    .symbol:         _Z8printAIGPKiS0_S0_iii.kd
    .uniform_work_group_size: 1
    .uses_dynamic_stack: false
    .vgpr_count:     39
    .vgpr_spill_count: 0
    .wavefront_size: 64
  - .args:
      - .address_space:  global
        .offset:         0
        .size:           8
        .value_kind:     global_buffer
      - .address_space:  global
        .offset:         8
        .size:           8
        .value_kind:     global_buffer
      - .address_space:  global
        .offset:         16
        .size:           8
        .value_kind:     global_buffer
      - .address_space:  global
        .offset:         24
        .size:           8
        .value_kind:     global_buffer
      - .address_space:  global
        .offset:         32
        .size:           8
        .value_kind:     global_buffer
      - .offset:         40
        .size:           4
        .value_kind:     by_value
      - .offset:         44
        .size:           4
        .value_kind:     by_value
      - .offset:         48
        .size:           4
        .value_kind:     by_value
      - .offset:         56
        .size:           4
        .value_kind:     hidden_block_count_x
      - .offset:         60
        .size:           4
        .value_kind:     hidden_block_count_y
      - .offset:         64
        .size:           4
        .value_kind:     hidden_block_count_z
      - .offset:         68
        .size:           2
        .value_kind:     hidden_group_size_x
      - .offset:         70
        .size:           2
        .value_kind:     hidden_group_size_y
      - .offset:         72
        .size:           2
        .value_kind:     hidden_group_size_z
      - .offset:         74
        .size:           2
        .value_kind:     hidden_remainder_x
      - .offset:         76
        .size:           2
        .value_kind:     hidden_remainder_y
      - .offset:         78
        .size:           2
        .value_kind:     hidden_remainder_z
      - .offset:         96
        .size:           8
        .value_kind:     hidden_global_offset_x
      - .offset:         104
        .size:           8
        .value_kind:     hidden_global_offset_y
      - .offset:         112
        .size:           8
        .value_kind:     hidden_global_offset_z
      - .offset:         120
        .size:           2
        .value_kind:     hidden_grid_dims
      - .offset:         136
        .size:           8
        .value_kind:     hidden_hostcall_buffer
    .group_segment_fixed_size: 0
    .kernarg_segment_align: 8
    .kernarg_segment_size: 312
    .language:       OpenCL C
    .language_version:
      - 2
      - 0
    .max_flat_workgroup_size: 1024
    .name:           _Z9printMffcPiS_S_PKiS1_iii
    .private_segment_fixed_size: 0
    .sgpr_count:     27
    .sgpr_spill_count: 0
    .symbol:         _Z9printMffcPiS_S_PKiS1_iii.kd
    .uniform_work_group_size: 1
    .uses_dynamic_stack: false
    .vgpr_count:     33
    .vgpr_spill_count: 0
    .wavefront_size: 64
amdhsa.target:   amdgcn-amd-amdhsa--gfx906
amdhsa.version:
  - 1
  - 2
...

	.end_amdgpu_metadata
